;; amdgpu-corpus repo=ROCm/rocFFT kind=compiled arch=gfx950 opt=O3
	.text
	.amdgcn_target "amdgcn-amd-amdhsa--gfx950"
	.amdhsa_code_object_version 6
	.protected	bluestein_single_back_len1950_dim1_dp_op_CI_CI ; -- Begin function bluestein_single_back_len1950_dim1_dp_op_CI_CI
	.globl	bluestein_single_back_len1950_dim1_dp_op_CI_CI
	.p2align	8
	.type	bluestein_single_back_len1950_dim1_dp_op_CI_CI,@function
bluestein_single_back_len1950_dim1_dp_op_CI_CI: ; @bluestein_single_back_len1950_dim1_dp_op_CI_CI
; %bb.0:
	s_load_dwordx4 s[4:7], s[0:1], 0x28
	v_mul_u32_u24_e32 v1, 0x151, v0
	v_mov_b32_e32 v227, 0
	v_add_u32_sdwa v228, s2, v1 dst_sel:DWORD dst_unused:UNUSED_PAD src0_sel:DWORD src1_sel:WORD_1
	v_mov_b32_e32 v229, v227
	s_waitcnt lgkmcnt(0)
	v_cmp_gt_u64_e32 vcc, s[4:5], v[228:229]
	s_and_saveexec_b64 s[2:3], vcc
	s_cbranch_execz .LBB0_23
; %bb.1:
	s_load_dwordx2 s[14:15], s[0:1], 0x0
	s_load_dwordx2 s[12:13], s[0:1], 0x38
	s_movk_i32 s2, 0xc3
	v_mul_lo_u16_sdwa v1, v1, s2 dst_sel:DWORD dst_unused:UNUSED_PAD src0_sel:WORD_1 src1_sel:DWORD
	v_sub_u16_e32 v226, v0, v1
	s_movk_i32 s2, 0x96
	v_cmp_gt_u16_e64 s[4:5], s2, v226
	v_lshlrev_b32_e32 v180, 4, v226
	s_and_saveexec_b64 s[2:3], s[4:5]
	s_cbranch_execz .LBB0_3
; %bb.2:
	s_load_dwordx2 s[8:9], s[0:1], 0x18
	v_mov_b32_e32 v0, s6
	v_mov_b32_e32 v1, s7
	;; [unrolled: 1-line block ×4, first 2 shown]
	s_waitcnt lgkmcnt(0)
	s_load_dwordx4 s[8:11], s[8:9], 0x0
	v_lshl_add_u64 v[20:21], s[14:15], 0, v[180:181]
	s_waitcnt lgkmcnt(0)
	v_mad_u64_u32 v[2:3], s[6:7], s10, v228, 0
	v_mad_u64_u32 v[4:5], s[6:7], s8, v226, 0
	v_mov_b32_e32 v6, v3
	v_mov_b32_e32 v8, v5
	v_mad_u64_u32 v[6:7], s[6:7], s11, v228, v[6:7]
	v_mov_b32_e32 v3, v6
	v_mad_u64_u32 v[6:7], s[6:7], s9, v226, v[8:9]
	v_mov_b32_e32 v5, v6
	v_lshl_add_u64 v[0:1], v[2:3], 4, v[0:1]
	v_lshl_add_u64 v[8:9], v[4:5], 4, v[0:1]
	v_mad_u64_u32 v[26:27], s[6:7], s8, v106, v[8:9]
	s_movk_i32 s7, 0x1000
	s_nop 0
	v_add_co_u32_e32 v24, vcc, s7, v20
	s_movk_i32 s7, 0x2000
	s_nop 0
	v_addc_co_u32_e32 v25, vcc, 0, v21, vcc
	s_mul_i32 s6, s9, 0x960
	v_add_co_u32_e32 v50, vcc, s7, v20
	v_add_u32_e32 v27, s6, v27
	s_movk_i32 s9, 0x3000
	v_addc_co_u32_e32 v51, vcc, 0, v21, vcc
	v_mad_u64_u32 v[22:23], s[10:11], s8, v106, v[26:27]
	v_add_co_u32_e32 v52, vcc, s9, v20
	s_movk_i32 s10, 0x4000
	s_nop 0
	v_addc_co_u32_e32 v53, vcc, 0, v21, vcc
	global_load_dwordx4 v[0:3], v[8:9], off
	global_load_dwordx4 v[4:7], v180, s[14:15]
	v_add_co_u32_e32 v82, vcc, s10, v20
	global_load_dwordx4 v[8:11], v180, s[14:15] offset:2400
	v_add_u32_e32 v23, s6, v23
	s_movk_i32 s11, 0x7000
	v_addc_co_u32_e32 v83, vcc, 0, v21, vcc
	global_load_dwordx4 v[16:19], v[26:27], off
	global_load_dwordx4 v[12:15], v[22:23], off
	v_add_co_u32_e32 v102, vcc, s11, v20
	v_mad_u64_u32 v[54:55], s[10:11], s8, v106, v[22:23]
	v_add_u32_e32 v55, s6, v55
	v_mad_u64_u32 v[56:57], s[10:11], s8, v106, v[54:55]
	v_add_u32_e32 v57, s6, v57
	global_load_dwordx4 v[26:29], v[24:25], off offset:704
	global_load_dwordx4 v[30:33], v[24:25], off offset:3104
	;; [unrolled: 1-line block ×6, first 2 shown]
	s_nop 0
	global_load_dwordx4 v[22:25], v[54:55], off
	global_load_dwordx4 v[50:53], v[56:57], off
	v_mad_u64_u32 v[58:59], s[10:11], s8, v106, v[56:57]
	v_add_u32_e32 v59, s6, v59
	v_mad_u64_u32 v[62:63], s[10:11], s8, v106, v[58:59]
	global_load_dwordx4 v[54:57], v[58:59], off
	v_add_u32_e32 v63, s6, v63
	v_mad_u64_u32 v[66:67], s[10:11], s8, v106, v[62:63]
	global_load_dwordx4 v[58:61], v[62:63], off
	;; [unrolled: 3-line block ×3, first 2 shown]
	v_add_u32_e32 v71, s6, v71
	v_addc_co_u32_e32 v103, vcc, 0, v21, vcc
	v_mad_u64_u32 v[84:85], s[10:11], s8, v106, v[70:71]
	s_movk_i32 s7, 0x5000
	global_load_dwordx4 v[66:69], v[70:71], off
	v_add_u32_e32 v85, s6, v85
	v_add_co_u32_e32 v90, vcc, s7, v20
	global_load_dwordx4 v[70:73], v[84:85], off
	s_nop 0
	v_addc_co_u32_e32 v91, vcc, 0, v21, vcc
	global_load_dwordx4 v[74:77], v[82:83], off offset:2816
	global_load_dwordx4 v[78:81], v[90:91], off offset:1120
	v_mad_u64_u32 v[92:93], s[10:11], s8, v106, v[84:85]
	v_add_u32_e32 v93, s6, v93
	s_movk_i32 s7, 0x6000
	global_load_dwordx4 v[82:85], v[92:93], off
	global_load_dwordx4 v[86:89], v[90:91], off offset:3520
	v_mad_u64_u32 v[104:105], s[10:11], s8, v106, v[92:93]
	v_add_co_u32_e32 v20, vcc, s7, v20
	v_add_u32_e32 v105, s6, v105
	s_nop 0
	v_addc_co_u32_e32 v21, vcc, 0, v21, vcc
	global_load_dwordx4 v[90:93], v[104:105], off
	global_load_dwordx4 v[94:97], v[20:21], off offset:1824
	global_load_dwordx4 v[98:101], v[102:103], off offset:128
	v_mad_u64_u32 v[20:21], s[8:9], s8, v106, v[104:105]
	v_add_u32_e32 v21, s6, v21
	global_load_dwordx4 v[102:105], v[20:21], off
	s_waitcnt vmcnt(24)
	v_mul_f64 v[106:107], v[2:3], v[6:7]
	v_mul_f64 v[6:7], v[0:1], v[6:7]
	v_fmac_f64_e32 v[106:107], v[0:1], v[4:5]
	v_fma_f64 v[108:109], v[2:3], v[4:5], -v[6:7]
	ds_write_b128 v180, v[106:109]
	s_waitcnt vmcnt(22)
	v_mul_f64 v[0:1], v[18:19], v[10:11]
	v_mul_f64 v[2:3], v[16:17], v[10:11]
	v_fmac_f64_e32 v[0:1], v[16:17], v[8:9]
	v_fma_f64 v[2:3], v[18:19], v[8:9], -v[2:3]
	ds_write_b128 v180, v[0:3] offset:2400
	s_waitcnt vmcnt(20)
	v_mul_f64 v[0:1], v[14:15], v[28:29]
	v_mul_f64 v[2:3], v[12:13], v[28:29]
	v_fmac_f64_e32 v[0:1], v[12:13], v[26:27]
	v_fma_f64 v[2:3], v[14:15], v[26:27], -v[2:3]
	ds_write_b128 v180, v[0:3] offset:4800
	s_waitcnt vmcnt(14)
	v_mul_f64 v[0:1], v[24:25], v[32:33]
	v_mul_f64 v[2:3], v[22:23], v[32:33]
	v_fmac_f64_e32 v[0:1], v[22:23], v[30:31]
	v_fma_f64 v[2:3], v[24:25], v[30:31], -v[2:3]
	ds_write_b128 v180, v[0:3] offset:7200
	s_waitcnt vmcnt(13)
	v_mul_f64 v[0:1], v[52:53], v[36:37]
	v_mul_f64 v[2:3], v[50:51], v[36:37]
	v_fmac_f64_e32 v[0:1], v[50:51], v[34:35]
	v_fma_f64 v[2:3], v[52:53], v[34:35], -v[2:3]
	ds_write_b128 v180, v[0:3] offset:9600
	s_waitcnt vmcnt(12)
	v_mul_f64 v[0:1], v[56:57], v[40:41]
	v_mul_f64 v[2:3], v[54:55], v[40:41]
	v_fmac_f64_e32 v[0:1], v[54:55], v[38:39]
	v_fma_f64 v[2:3], v[56:57], v[38:39], -v[2:3]
	ds_write_b128 v180, v[0:3] offset:12000
	s_waitcnt vmcnt(11)
	v_mul_f64 v[0:1], v[60:61], v[44:45]
	v_mul_f64 v[2:3], v[58:59], v[44:45]
	v_fmac_f64_e32 v[0:1], v[58:59], v[42:43]
	v_fma_f64 v[2:3], v[60:61], v[42:43], -v[2:3]
	ds_write_b128 v180, v[0:3] offset:14400
	s_waitcnt vmcnt(10)
	v_mul_f64 v[0:1], v[64:65], v[48:49]
	v_mul_f64 v[2:3], v[62:63], v[48:49]
	v_fmac_f64_e32 v[0:1], v[62:63], v[46:47]
	v_fma_f64 v[2:3], v[64:65], v[46:47], -v[2:3]
	ds_write_b128 v180, v[0:3] offset:16800
	s_waitcnt vmcnt(7)
	v_mul_f64 v[0:1], v[68:69], v[76:77]
	v_mul_f64 v[2:3], v[66:67], v[76:77]
	v_fmac_f64_e32 v[0:1], v[66:67], v[74:75]
	v_fma_f64 v[2:3], v[68:69], v[74:75], -v[2:3]
	ds_write_b128 v180, v[0:3] offset:19200
	s_waitcnt vmcnt(6)
	v_mul_f64 v[0:1], v[72:73], v[80:81]
	v_mul_f64 v[2:3], v[70:71], v[80:81]
	v_fmac_f64_e32 v[0:1], v[70:71], v[78:79]
	v_fma_f64 v[2:3], v[72:73], v[78:79], -v[2:3]
	ds_write_b128 v180, v[0:3] offset:21600
	s_waitcnt vmcnt(4)
	v_mul_f64 v[0:1], v[84:85], v[88:89]
	v_mul_f64 v[2:3], v[82:83], v[88:89]
	v_fmac_f64_e32 v[0:1], v[82:83], v[86:87]
	v_fma_f64 v[2:3], v[84:85], v[86:87], -v[2:3]
	ds_write_b128 v180, v[0:3] offset:24000
	s_waitcnt vmcnt(2)
	v_mul_f64 v[0:1], v[92:93], v[96:97]
	v_mul_f64 v[2:3], v[90:91], v[96:97]
	v_fmac_f64_e32 v[0:1], v[90:91], v[94:95]
	v_fma_f64 v[2:3], v[92:93], v[94:95], -v[2:3]
	ds_write_b128 v180, v[0:3] offset:26400
	s_waitcnt vmcnt(0)
	v_mul_f64 v[0:1], v[104:105], v[100:101]
	v_mul_f64 v[2:3], v[102:103], v[100:101]
	v_fmac_f64_e32 v[0:1], v[102:103], v[98:99]
	v_fma_f64 v[2:3], v[104:105], v[98:99], -v[2:3]
	ds_write_b128 v180, v[0:3] offset:28800
.LBB0_3:
	s_or_b64 exec, exec, s[2:3]
	s_load_dwordx2 s[2:3], s[0:1], 0x20
	s_load_dwordx2 s[6:7], s[0:1], 0x8
	s_waitcnt lgkmcnt(0)
	s_barrier
	s_waitcnt lgkmcnt(0)
                                        ; implicit-def: $vgpr4_vgpr5
                                        ; implicit-def: $vgpr8_vgpr9
                                        ; implicit-def: $vgpr12_vgpr13
                                        ; implicit-def: $vgpr16_vgpr17
                                        ; implicit-def: $vgpr20_vgpr21
                                        ; implicit-def: $vgpr24_vgpr25
                                        ; implicit-def: $vgpr28_vgpr29
                                        ; implicit-def: $vgpr32_vgpr33
                                        ; implicit-def: $vgpr36_vgpr37
                                        ; implicit-def: $vgpr40_vgpr41
                                        ; implicit-def: $vgpr44_vgpr45
                                        ; implicit-def: $vgpr48_vgpr49
                                        ; implicit-def: $vgpr52_vgpr53
	s_and_saveexec_b64 s[0:1], s[4:5]
	s_cbranch_execz .LBB0_5
; %bb.4:
	ds_read_b128 v[4:7], v180
	ds_read_b128 v[8:11], v180 offset:2400
	ds_read_b128 v[12:15], v180 offset:4800
	;; [unrolled: 1-line block ×12, first 2 shown]
.LBB0_5:
	s_or_b64 exec, exec, s[0:1]
	s_mov_b32 s20, 0x4267c47c
	s_waitcnt lgkmcnt(0)
	v_add_f64 v[72:73], v[10:11], -v[54:55]
	s_mov_b32 s0, 0xe00740e9
	s_mov_b32 s21, 0xbfddbe06
	;; [unrolled: 1-line block ×3, first 2 shown]
	v_add_f64 v[84:85], v[8:9], v[52:53]
	v_add_f64 v[90:91], v[8:9], -v[52:53]
	s_mov_b32 s1, 0x3fec55a7
	v_mul_f64 v[76:77], v[72:73], s[20:21]
	s_mov_b32 s8, 0x1ea71119
	s_mov_b32 s25, 0xbfea55e2
	v_add_f64 v[118:119], v[14:15], -v[50:51]
	v_add_f64 v[74:75], v[10:11], v[54:55]
	v_mul_f64 v[78:79], v[90:91], s[20:21]
	v_fma_f64 v[0:1], s[0:1], v[84:85], v[76:77]
	s_mov_b32 s9, 0x3fe22d96
	s_mov_b32 s16, 0x66966769
	v_add_f64 v[94:95], v[12:13], v[48:49]
	v_add_f64 v[100:101], v[12:13], -v[48:49]
	v_mul_f64 v[80:81], v[118:119], s[24:25]
	v_add_f64 v[0:1], v[4:5], v[0:1]
	v_fma_f64 v[2:3], v[74:75], s[0:1], -v[78:79]
	s_mov_b32 s10, 0xebaa3ed8
	s_mov_b32 s17, 0xbfefc445
	v_add_f64 v[130:131], v[14:15], v[50:51]
	v_mul_f64 v[82:83], v[100:101], s[24:25]
	v_fma_f64 v[56:57], s[8:9], v[94:95], v[80:81]
	v_add_f64 v[144:145], v[18:19], -v[46:47]
	v_add_f64 v[2:3], v[6:7], v[2:3]
	s_mov_b32 s11, 0x3fbedb7d
	v_add_f64 v[0:1], v[56:57], v[0:1]
	v_fma_f64 v[56:57], v[130:131], s[8:9], -v[82:83]
	v_add_f64 v[102:103], v[16:17], v[44:45]
	v_mul_f64 v[86:87], v[144:145], s[16:17]
	v_add_f64 v[122:123], v[16:17], -v[44:45]
	s_mov_b32 s28, 0x2ef20147
	v_add_f64 v[2:3], v[56:57], v[2:3]
	v_add_f64 v[128:129], v[18:19], v[46:47]
	v_fma_f64 v[56:57], s[10:11], v[102:103], v[86:87]
	v_mul_f64 v[88:89], v[122:123], s[16:17]
	s_mov_b32 s22, 0xb2365da1
	s_mov_b32 s29, 0xbfedeba7
	v_add_f64 v[168:169], v[22:23], -v[42:43]
	v_add_f64 v[0:1], v[56:57], v[0:1]
	v_fma_f64 v[56:57], v[128:129], s[10:11], -v[88:89]
	s_mov_b32 s23, 0xbfd6b1d8
	v_add_f64 v[116:117], v[20:21], v[40:41]
	v_mul_f64 v[92:93], v[168:169], s[28:29]
	v_add_f64 v[150:151], v[20:21], -v[40:41]
	s_mov_b32 s30, 0x24c2f84
	v_add_f64 v[2:3], v[56:57], v[2:3]
	v_fma_f64 v[56:57], s[22:23], v[116:117], v[92:93]
	v_add_f64 v[134:135], v[22:23], v[42:43]
	v_mul_f64 v[96:97], v[150:151], s[28:29]
	s_mov_b32 s26, 0xd0032e0c
	s_mov_b32 s31, 0x3fe5384d
	;; [unrolled: 1-line block ×4, first 2 shown]
	v_add_f64 v[204:205], v[26:27], -v[38:39]
	v_add_f64 v[0:1], v[56:57], v[0:1]
	v_fma_f64 v[56:57], v[134:135], s[22:23], -v[96:97]
	s_mov_b32 s27, 0xbfe7f3cc
	v_add_f64 v[148:149], v[24:25], v[36:37]
	v_mul_f64 v[98:99], v[204:205], s[36:37]
	v_add_f64 v[178:179], v[24:25], -v[36:37]
	s_mov_b32 s40, 0x4bc48dbf
	v_add_f64 v[2:3], v[56:57], v[2:3]
	v_fma_f64 v[56:57], s[26:27], v[148:149], v[98:99]
	v_add_f64 v[154:155], v[26:27], v[38:39]
	v_mul_f64 v[112:113], v[178:179], s[36:37]
	s_mov_b32 s34, 0x93053d00
	s_mov_b32 s41, 0xbfcea1e5
	v_add_f64 v[220:221], v[30:31], -v[34:35]
	v_add_f64 v[0:1], v[56:57], v[0:1]
	v_fma_f64 v[56:57], v[154:155], s[26:27], -v[112:113]
	s_mov_b32 s35, 0xbfef11f4
	v_add_f64 v[158:159], v[28:29], v[32:33]
	v_mul_f64 v[114:115], v[220:221], s[40:41]
	v_add_f64 v[212:213], v[28:29], -v[32:33]
	v_add_f64 v[2:3], v[56:57], v[2:3]
	v_fma_f64 v[56:57], s[34:35], v[158:159], v[114:115]
	v_add_f64 v[162:163], v[30:31], v[34:35]
	v_mul_f64 v[120:121], v[212:213], s[40:41]
	v_add_f64 v[248:249], v[56:57], v[0:1]
	v_fma_f64 v[0:1], v[162:163], s[34:35], -v[120:121]
	v_mul_f64 v[124:125], v[72:73], s[24:25]
	v_add_f64 v[250:251], v[0:1], v[2:3]
	v_fma_f64 v[0:1], s[8:9], v[84:85], v[124:125]
	v_mul_f64 v[126:127], v[118:119], s[28:29]
	v_add_f64 v[0:1], v[4:5], v[0:1]
	v_fma_f64 v[2:3], s[22:23], v[94:95], v[126:127]
	v_mul_f64 v[136:137], v[90:91], s[24:25]
	v_add_f64 v[0:1], v[2:3], v[0:1]
	v_fma_f64 v[2:3], v[74:75], s[8:9], -v[136:137]
	v_mul_f64 v[140:141], v[100:101], s[28:29]
	v_add_f64 v[2:3], v[6:7], v[2:3]
	v_fma_f64 v[56:57], v[130:131], s[22:23], -v[140:141]
	v_mul_f64 v[132:133], v[144:145], s[40:41]
	v_add_f64 v[2:3], v[56:57], v[2:3]
	v_fma_f64 v[56:57], s[34:35], v[102:103], v[132:133]
	v_mul_f64 v[146:147], v[122:123], s[40:41]
	v_add_f64 v[0:1], v[56:57], v[0:1]
	v_fma_f64 v[56:57], v[128:129], s[34:35], -v[146:147]
	v_mul_f64 v[138:139], v[168:169], s[30:31]
	v_add_f64 v[2:3], v[56:57], v[2:3]
	v_fma_f64 v[56:57], s[26:27], v[116:117], v[138:139]
	v_mul_f64 v[152:153], v[150:151], s[30:31]
	s_mov_b32 s43, 0x3fefc445
	s_mov_b32 s42, s16
	v_add_f64 v[0:1], v[56:57], v[0:1]
	v_fma_f64 v[56:57], v[134:135], s[26:27], -v[152:153]
	v_mul_f64 v[142:143], v[204:205], s[42:43]
	v_add_f64 v[2:3], v[56:57], v[2:3]
	v_fma_f64 v[56:57], s[10:11], v[148:149], v[142:143]
	v_mul_f64 v[160:161], v[178:179], s[42:43]
	s_mov_b32 s39, 0x3fddbe06
	s_mov_b32 s38, s20
	v_add_f64 v[0:1], v[56:57], v[0:1]
	v_fma_f64 v[56:57], v[154:155], s[10:11], -v[160:161]
	v_mul_f64 v[156:157], v[220:221], s[38:39]
	v_add_f64 v[2:3], v[56:57], v[2:3]
	v_fma_f64 v[56:57], s[0:1], v[158:159], v[156:157]
	v_mul_f64 v[164:165], v[212:213], s[38:39]
	v_add_f64 v[104:105], v[56:57], v[0:1]
	v_fma_f64 v[0:1], v[162:163], s[0:1], -v[164:165]
	v_mul_f64 v[170:171], v[72:73], s[16:17]
	v_add_f64 v[106:107], v[0:1], v[2:3]
	v_fma_f64 v[0:1], s[10:11], v[84:85], v[170:171]
	v_mul_f64 v[174:175], v[118:119], s[40:41]
	v_add_f64 v[0:1], v[4:5], v[0:1]
	v_fma_f64 v[2:3], s[34:35], v[94:95], v[174:175]
	v_mul_f64 v[190:191], v[90:91], s[16:17]
	v_add_f64 v[0:1], v[2:3], v[0:1]
	v_fma_f64 v[2:3], v[74:75], s[10:11], -v[190:191]
	v_mul_f64 v[196:197], v[100:101], s[40:41]
	s_mov_b32 s45, 0x3fedeba7
	s_mov_b32 s44, s28
	v_add_f64 v[2:3], v[6:7], v[2:3]
	v_fma_f64 v[56:57], v[130:131], s[34:35], -v[196:197]
	v_mul_f64 v[188:189], v[144:145], s[44:45]
	v_add_f64 v[2:3], v[56:57], v[2:3]
	v_fma_f64 v[56:57], s[22:23], v[102:103], v[188:189]
	v_mul_f64 v[202:203], v[122:123], s[44:45]
	v_add_f64 v[0:1], v[56:57], v[0:1]
	v_fma_f64 v[56:57], v[128:129], s[22:23], -v[202:203]
	v_mul_f64 v[194:195], v[168:169], s[38:39]
	v_add_f64 v[2:3], v[56:57], v[2:3]
	v_fma_f64 v[56:57], s[0:1], v[116:117], v[194:195]
	v_mul_f64 v[208:209], v[150:151], s[38:39]
	;; [unrolled: 6-line block ×4, first 2 shown]
	v_add_f64 v[108:109], v[56:57], v[0:1]
	v_fma_f64 v[0:1], v[162:163], s[26:27], -v[216:217]
	v_add_f64 v[110:111], v[0:1], v[2:3]
	v_mul_lo_u16_e32 v181, 13, v226
	s_barrier
	s_and_saveexec_b64 s[18:19], s[4:5]
	s_cbranch_execz .LBB0_7
; %bb.6:
	v_mul_f64 v[222:223], v[74:75], s[34:35]
	s_mov_b32 s47, 0x3fcea1e5
	s_mov_b32 s46, s40
	v_mul_f64 v[68:69], v[130:131], s[0:1]
	v_fma_f64 v[224:225], s[46:47], v[90:91], v[222:223]
	v_mul_f64 v[64:65], v[128:129], s[26:27]
	v_fma_f64 v[70:71], s[20:21], v[100:101], v[68:69]
	v_add_f64 v[224:225], v[6:7], v[224:225]
	v_mul_f64 v[236:237], v[72:73], s[40:41]
	v_mul_f64 v[62:63], v[134:135], s[8:9]
	v_fma_f64 v[66:67], s[30:31], v[122:123], v[64:65]
	v_add_f64 v[70:71], v[70:71], v[224:225]
	v_mul_f64 v[232:233], v[118:119], s[38:39]
	v_fma_f64 v[238:239], s[34:35], v[84:85], v[236:237]
	v_mul_f64 v[60:61], v[154:155], s[22:23]
	v_fma_f64 v[58:59], s[24:25], v[150:151], v[62:63]
	v_add_f64 v[66:67], v[66:67], v[70:71]
	s_mov_b32 s49, 0x3fea55e2
	s_mov_b32 s48, s24
	v_mov_b32_e32 v246, v228
	v_mul_f64 v[228:229], v[144:145], s[36:37]
	v_fma_f64 v[234:235], s[0:1], v[94:95], v[232:233]
	v_add_f64 v[238:239], v[4:5], v[238:239]
	v_mul_f64 v[0:1], v[162:163], s[10:11]
	v_fma_f64 v[56:57], s[44:45], v[178:179], v[60:61]
	v_add_f64 v[58:59], v[58:59], v[66:67]
	;; [unrolled: 3-line block ×3, first 2 shown]
	v_fma_f64 v[2:3], s[16:17], v[212:213], v[0:1]
	v_add_f64 v[56:57], v[56:57], v[58:59]
	v_mul_f64 v[66:67], v[204:205], s[28:29]
	v_mov_b64_e32 v[244:245], v[226:227]
	v_fma_f64 v[226:227], s[8:9], v[116:117], v[224:225]
	v_add_f64 v[230:231], v[230:231], v[234:235]
	v_add_f64 v[58:59], v[2:3], v[56:57]
	v_mul_f64 v[2:3], v[220:221], s[42:43]
	v_fma_f64 v[70:71], s[22:23], v[148:149], v[66:67]
	v_add_f64 v[226:227], v[226:227], v[230:231]
	v_fma_f64 v[56:57], s[10:11], v[158:159], v[2:3]
	v_add_f64 v[70:71], v[70:71], v[226:227]
	v_fmac_f64_e32 v[222:223], s[40:41], v[90:91]
	v_add_f64 v[56:57], v[56:57], v[70:71]
	v_fmac_f64_e32 v[68:69], s[38:39], v[100:101]
	v_add_f64 v[70:71], v[6:7], v[222:223]
	v_fmac_f64_e32 v[64:65], s[36:37], v[122:123]
	v_add_f64 v[68:69], v[68:69], v[70:71]
	v_fmac_f64_e32 v[62:63], s[48:49], v[150:151]
	v_add_f64 v[64:65], v[64:65], v[68:69]
	v_fmac_f64_e32 v[60:61], s[28:29], v[178:179]
	v_add_f64 v[62:63], v[62:63], v[64:65]
	v_fmac_f64_e32 v[0:1], s[42:43], v[212:213]
	v_add_f64 v[60:61], v[60:61], v[62:63]
	v_fma_f64 v[68:69], v[84:85], s[34:35], -v[236:237]
	v_add_f64 v[62:63], v[0:1], v[60:61]
	v_fma_f64 v[0:1], v[158:159], s[10:11], -v[2:3]
	v_fma_f64 v[2:3], v[148:149], s[22:23], -v[66:67]
	;; [unrolled: 1-line block ×3, first 2 shown]
	v_add_f64 v[68:69], v[4:5], v[68:69]
	v_mul_f64 v[230:231], v[74:75], s[26:27]
	v_fma_f64 v[64:65], v[102:103], s[26:27], -v[228:229]
	v_add_f64 v[66:67], v[66:67], v[68:69]
	v_mul_f64 v[226:227], v[130:131], s[10:11]
	v_fma_f64 v[232:233], s[30:31], v[90:91], v[230:231]
	v_fma_f64 v[60:61], v[116:117], s[8:9], -v[224:225]
	v_add_f64 v[64:65], v[64:65], v[66:67]
	v_mul_f64 v[222:223], v[128:129], s[8:9]
	v_fma_f64 v[228:229], s[16:17], v[100:101], v[226:227]
	v_add_f64 v[232:233], v[6:7], v[232:233]
	v_add_f64 v[60:61], v[60:61], v[64:65]
	v_mul_f64 v[70:71], v[134:135], s[34:35]
	v_fma_f64 v[224:225], s[48:49], v[122:123], v[222:223]
	v_add_f64 v[228:229], v[228:229], v[232:233]
	;; [unrolled: 4-line block ×3, first 2 shown]
	v_fmac_f64_e32 v[230:231], s[36:37], v[90:91]
	v_add_f64 v[60:61], v[0:1], v[2:3]
	v_mul_f64 v[0:1], v[162:163], s[22:23]
	v_fma_f64 v[64:65], s[20:21], v[178:179], v[68:69]
	v_add_f64 v[66:67], v[66:67], v[224:225]
	v_mul_f64 v[236:237], v[72:73], s[36:37]
	v_fmac_f64_e32 v[226:227], s[42:43], v[100:101]
	v_add_f64 v[230:231], v[6:7], v[230:231]
	v_fma_f64 v[2:3], s[44:45], v[212:213], v[0:1]
	v_add_f64 v[64:65], v[64:65], v[66:67]
	v_mul_f64 v[234:235], v[118:119], s[42:43]
	v_fma_f64 v[238:239], s[26:27], v[84:85], v[236:237]
	v_add_f64 v[226:227], v[226:227], v[230:231]
	v_fmac_f64_e32 v[222:223], s[24:25], v[122:123]
	v_add_f64 v[66:67], v[2:3], v[64:65]
	v_mul_f64 v[232:233], v[144:145], s[24:25]
	v_fma_f64 v[64:65], s[10:11], v[94:95], v[234:235]
	v_add_f64 v[238:239], v[4:5], v[238:239]
	v_add_f64 v[222:223], v[222:223], v[226:227]
	v_fmac_f64_e32 v[70:71], s[46:47], v[150:151]
	v_mul_f64 v[228:229], v[168:169], s[46:47]
	v_add_f64 v[64:65], v[64:65], v[238:239]
	v_fma_f64 v[238:239], s[8:9], v[102:103], v[232:233]
	v_add_f64 v[70:71], v[70:71], v[222:223]
	v_fmac_f64_e32 v[68:69], s[38:39], v[178:179]
	v_mul_f64 v[224:225], v[204:205], s[38:39]
	v_add_f64 v[64:65], v[238:239], v[64:65]
	v_fma_f64 v[238:239], s[34:35], v[116:117], v[228:229]
	v_fmac_f64_e32 v[0:1], s[28:29], v[212:213]
	v_add_f64 v[68:69], v[68:69], v[70:71]
	v_mul_f64 v[2:3], v[220:221], s[28:29]
	v_add_f64 v[64:65], v[238:239], v[64:65]
	v_fma_f64 v[238:239], s[0:1], v[148:149], v[224:225]
	v_add_f64 v[70:71], v[0:1], v[68:69]
	v_fma_f64 v[68:69], v[116:117], s[34:35], -v[228:229]
	v_fma_f64 v[228:229], v[84:85], s[26:27], -v[236:237]
	v_mul_f64 v[236:237], v[74:75], s[22:23]
	v_mul_f64 v[176:177], v[74:75], s[0:1]
	;; [unrolled: 1-line block ×6, first 2 shown]
	v_add_f64 v[64:65], v[238:239], v[64:65]
	v_fma_f64 v[238:239], s[22:23], v[158:159], v[2:3]
	v_mul_f64 v[240:241], v[130:131], s[34:35]
	v_fma_f64 v[0:1], v[158:159], s[22:23], -v[2:3]
	v_fma_f64 v[2:3], v[148:149], s[0:1], -v[224:225]
	;; [unrolled: 1-line block ×3, first 2 shown]
	v_add_f64 v[228:229], v[4:5], v[228:229]
	v_mul_f64 v[130:131], v[130:131], s[26:27]
	v_fma_f64 v[74:75], s[44:45], v[90:91], v[236:237]
	v_fma_f64 v[222:223], v[102:103], s[8:9], -v[232:233]
	v_add_f64 v[224:225], v[224:225], v[228:229]
	v_mul_f64 v[232:233], v[128:129], s[0:1]
	v_fma_f64 v[234:235], s[36:37], v[100:101], v[130:131]
	v_add_f64 v[74:75], v[6:7], v[74:75]
	v_add_f64 v[222:223], v[222:223], v[224:225]
	v_mul_f64 v[228:229], v[134:135], s[10:11]
	v_add_f64 v[74:75], v[234:235], v[74:75]
	v_fma_f64 v[234:235], s[20:21], v[122:123], v[232:233]
	v_add_f64 v[68:69], v[68:69], v[222:223]
	v_mul_f64 v[222:223], v[154:155], s[34:35]
	v_add_f64 v[74:75], v[234:235], v[74:75]
	v_fma_f64 v[234:235], s[42:43], v[150:151], v[228:229]
	v_add_f64 v[2:3], v[2:3], v[68:69]
	v_fma_f64 v[224:225], s[40:41], v[178:179], v[222:223]
	v_add_f64 v[74:75], v[234:235], v[74:75]
	v_add_f64 v[68:69], v[0:1], v[2:3]
	v_mul_f64 v[0:1], v[162:163], s[8:9]
	v_add_f64 v[74:75], v[224:225], v[74:75]
	v_mul_f64 v[224:225], v[72:73], s[28:29]
	v_fmac_f64_e32 v[236:237], s[28:29], v[90:91]
	v_fma_f64 v[2:3], s[24:25], v[212:213], v[0:1]
	v_mul_f64 v[118:119], v[118:119], s[30:31]
	v_fma_f64 v[72:73], s[22:23], v[84:85], v[224:225]
	v_fmac_f64_e32 v[228:229], s[16:17], v[150:151]
	v_mul_f64 v[150:151], v[134:135], s[22:23]
	v_fmac_f64_e32 v[130:131], s[30:31], v[100:101]
	v_mul_f64 v[242:243], v[134:135], s[26:27]
	v_mul_f64 v[100:101], v[134:135], s[0:1]
	v_add_f64 v[134:135], v[6:7], v[236:237]
	v_add_f64 v[74:75], v[2:3], v[74:75]
	v_mul_f64 v[2:3], v[220:221], s[48:49]
	v_mul_f64 v[144:145], v[144:145], s[38:39]
	v_fma_f64 v[220:221], s[26:27], v[94:95], v[118:119]
	v_add_f64 v[72:73], v[4:5], v[72:73]
	v_fmac_f64_e32 v[232:233], s[38:39], v[122:123]
	v_add_f64 v[130:131], v[130:131], v[134:135]
	v_mul_f64 v[168:169], v[168:169], s[16:17]
	v_add_f64 v[72:73], v[220:221], v[72:73]
	v_fma_f64 v[220:221], s[0:1], v[102:103], v[144:145]
	v_add_f64 v[130:131], v[232:233], v[130:131]
	v_mul_f64 v[204:205], v[204:205], s[46:47]
	v_add_f64 v[72:73], v[220:221], v[72:73]
	v_fma_f64 v[220:221], s[10:11], v[116:117], v[168:169]
	v_fmac_f64_e32 v[222:223], s[46:47], v[178:179]
	v_add_f64 v[130:131], v[228:229], v[130:131]
	v_mul_f64 v[166:167], v[84:85], s[0:1]
	v_mul_f64 v[192:193], v[84:85], s[8:9]
	;; [unrolled: 1-line block ×3, first 2 shown]
	v_add_f64 v[72:73], v[220:221], v[72:73]
	v_fma_f64 v[220:221], s[34:35], v[148:149], v[204:205]
	v_fmac_f64_e32 v[0:1], s[48:49], v[212:213]
	v_add_f64 v[130:131], v[222:223], v[130:131]
	v_fma_f64 v[84:85], v[84:85], s[22:23], -v[224:225]
	v_mul_f64 v[172:173], v[94:95], s[8:9]
	v_mul_f64 v[198:199], v[94:95], s[22:23]
	v_add_f64 v[64:65], v[238:239], v[64:65]
	v_mul_f64 v[238:239], v[94:95], s[34:35]
	v_add_f64 v[72:73], v[220:221], v[72:73]
	v_fma_f64 v[220:221], s[8:9], v[158:159], v[2:3]
	v_fma_f64 v[94:95], v[94:95], s[26:27], -v[118:119]
	v_fma_f64 v[224:225], v[158:159], s[8:9], -v[2:3]
	v_add_f64 v[2:3], v[0:1], v[130:131]
	v_add_f64 v[0:1], v[4:5], v[84:85]
	v_mul_f64 v[230:231], v[102:103], s[10:11]
	v_mul_f64 v[226:227], v[128:129], s[10:11]
	v_add_f64 v[72:73], v[220:221], v[72:73]
	v_mul_f64 v[220:221], v[102:103], s[34:35]
	v_mul_f64 v[234:235], v[128:129], s[34:35]
	;; [unrolled: 1-line block ×4, first 2 shown]
	v_fma_f64 v[102:103], v[102:103], s[0:1], -v[144:145]
	v_add_f64 v[0:1], v[94:95], v[0:1]
	v_mul_f64 v[178:179], v[116:117], s[22:23]
	v_mul_f64 v[122:123], v[116:117], s[26:27]
	;; [unrolled: 1-line block ×3, first 2 shown]
	v_fma_f64 v[116:117], v[116:117], s[10:11], -v[168:169]
	v_add_f64 v[0:1], v[102:103], v[0:1]
	v_add_f64 v[102:103], v[202:203], v[128:129]
	;; [unrolled: 1-line block ×7, first 2 shown]
	v_mul_f64 v[232:233], v[154:155], s[26:27]
	v_mul_f64 v[222:223], v[154:155], s[10:11]
	;; [unrolled: 1-line block ×3, first 2 shown]
	v_add_f64 v[100:101], v[208:209], v[100:101]
	v_add_f64 v[102:103], v[102:103], v[116:117]
	v_add_f64 v[128:129], v[214:215], -v[170:171]
	v_add_f64 v[94:95], v[210:211], v[154:155]
	v_add_f64 v[100:101], v[100:101], v[102:103]
	v_add_f64 v[116:117], v[238:239], -v[174:175]
	v_add_f64 v[128:129], v[4:5], v[128:129]
	v_mul_f64 v[144:145], v[162:163], s[34:35]
	v_mul_f64 v[118:119], v[162:163], s[0:1]
	;; [unrolled: 1-line block ×3, first 2 shown]
	v_add_f64 v[94:95], v[94:95], v[100:101]
	v_add_f64 v[100:101], v[212:213], -v[188:189]
	v_add_f64 v[116:117], v[116:117], v[128:129]
	v_mul_f64 v[134:135], v[148:149], s[26:27]
	v_mul_f64 v[228:229], v[148:149], s[10:11]
	v_fma_f64 v[204:205], v[148:149], s[34:35], -v[204:205]
	v_mul_f64 v[148:149], v[148:149], s[8:9]
	v_add_f64 v[84:85], v[216:217], v[162:163]
	v_add_f64 v[90:91], v[90:91], -v[194:195]
	v_add_f64 v[100:101], v[100:101], v[116:117]
	v_mul_f64 v[168:169], v[158:159], s[34:35]
	v_mul_f64 v[236:237], v[158:159], s[0:1]
	;; [unrolled: 1-line block ×3, first 2 shown]
	v_add_f64 v[102:103], v[84:85], v[94:95]
	v_add_f64 v[94:95], v[148:149], -v[200:201]
	v_add_f64 v[90:91], v[90:91], v[100:101]
	v_add_f64 v[84:85], v[158:159], -v[206:207]
	v_add_f64 v[90:91], v[94:95], v[90:91]
	v_add_f64 v[128:129], v[136:137], v[184:185]
	;; [unrolled: 1-line block ×6, first 2 shown]
	v_add_f64 v[124:125], v[192:193], -v[124:125]
	v_add_f64 v[78:79], v[78:79], v[176:177]
	v_add_f64 v[76:77], v[166:167], -v[76:77]
	v_add_f64 v[116:117], v[146:147], v[234:235]
	v_add_f64 v[118:119], v[118:119], v[128:129]
	v_add_f64 v[124:125], v[4:5], v[124:125]
	v_add_f64 v[78:79], v[6:7], v[78:79]
	v_add_f64 v[76:77], v[4:5], v[76:77]
	v_add_f64 v[6:7], v[6:7], v[10:11]
	v_add_f64 v[4:5], v[4:5], v[8:9]
	v_add_f64 v[94:95], v[152:153], v[242:243]
	v_add_f64 v[116:117], v[116:117], v[118:119]
	v_add_f64 v[6:7], v[6:7], v[14:15]
	v_add_f64 v[4:5], v[4:5], v[12:13]
	v_add_f64 v[90:91], v[160:161], v[222:223]
	v_add_f64 v[94:95], v[94:95], v[116:117]
	v_add_f64 v[6:7], v[6:7], v[18:19]
	v_add_f64 v[4:5], v[4:5], v[16:17]
	v_add_f64 v[90:91], v[90:91], v[94:95]
	v_add_f64 v[94:95], v[122:123], -v[138:139]
	v_add_f64 v[122:123], v[198:199], -v[126:127]
	v_add_f64 v[6:7], v[6:7], v[22:23]
	v_add_f64 v[4:5], v[4:5], v[20:21]
	v_add_f64 v[116:117], v[220:221], -v[132:133]
	v_add_f64 v[122:123], v[122:123], v[124:125]
	v_add_f64 v[6:7], v[6:7], v[26:27]
	;; [unrolled: 1-line block ×8, first 2 shown]
	v_add_f64 v[90:91], v[228:229], -v[142:143]
	v_add_f64 v[94:95], v[94:95], v[116:117]
	v_add_f64 v[88:89], v[88:89], v[226:227]
	;; [unrolled: 1-line block ×5, first 2 shown]
	v_add_f64 v[84:85], v[236:237], -v[156:157]
	v_add_f64 v[90:91], v[90:91], v[94:95]
	v_add_f64 v[94:95], v[96:97], v[150:151]
	v_add_f64 v[78:79], v[88:89], v[78:79]
	v_add_f64 v[80:81], v[172:173], -v[80:81]
	v_add_f64 v[6:7], v[6:7], v[38:39]
	v_add_f64 v[4:5], v[4:5], v[36:37]
	v_add_f64 v[116:117], v[84:85], v[90:91]
	v_add_f64 v[90:91], v[112:113], v[232:233]
	v_add_f64 v[78:79], v[94:95], v[78:79]
	v_add_f64 v[86:87], v[230:231], -v[86:87]
	v_add_f64 v[76:77], v[80:81], v[76:77]
	v_add_f64 v[6:7], v[6:7], v[42:43]
	;; [unrolled: 6-line block ×3, first 2 shown]
	v_add_f64 v[4:5], v[4:5], v[44:45]
	v_add_f64 v[78:79], v[84:85], v[78:79]
	v_add_f64 v[84:85], v[134:135], -v[98:99]
	v_add_f64 v[76:77], v[88:89], v[76:77]
	v_add_f64 v[6:7], v[6:7], v[50:51]
	;; [unrolled: 1-line block ×4, first 2 shown]
	v_mov_b32_e32 v228, v246
	v_mov_b64_e32 v[226:227], v[244:245]
	v_add_f64 v[82:83], v[168:169], -v[114:115]
	v_add_f64 v[76:77], v[84:85], v[76:77]
	v_add_f64 v[6:7], v[6:7], v[54:55]
	v_add_f64 v[4:5], v[4:5], v[52:53]
	v_lshlrev_b32_e32 v8, 4, v181
	v_add_f64 v[0:1], v[224:225], v[0:1]
	v_add_f64 v[76:77], v[82:83], v[76:77]
	ds_write_b128 v8, v[4:7]
	ds_write_b128 v8, v[76:79] offset:16
	ds_write_b128 v8, v[116:119] offset:32
	;; [unrolled: 1-line block ×12, first 2 shown]
.LBB0_7:
	s_or_b64 exec, exec, s[18:19]
	s_movk_i32 s0, 0x4f
	v_mul_lo_u16_sdwa v0, v226, s0 dst_sel:DWORD dst_unused:UNUSED_PAD src0_sel:BYTE_0 src1_sel:DWORD
	v_lshrrev_b16_e32 v8, 10, v0
	v_mul_lo_u16_e32 v0, 13, v8
	v_sub_u16_e32 v0, v226, v0
	v_and_b32_e32 v9, 0xff, v0
	s_mov_b64 s[0:1], 0xc3
	v_lshlrev_b32_e32 v0, 6, v9
	v_lshl_add_u64 v[72:73], v[226:227], 0, s[0:1]
	s_movk_i32 s0, 0x4ec5
	s_load_dwordx4 s[8:11], s[2:3], 0x0
	s_waitcnt lgkmcnt(0)
	s_barrier
	global_load_dwordx4 v[86:89], v0, s[6:7]
	global_load_dwordx4 v[20:23], v0, s[6:7] offset:16
	global_load_dwordx4 v[16:19], v0, s[6:7] offset:32
	global_load_dwordx4 v[12:15], v0, s[6:7] offset:48
	v_mul_u32_u24_sdwa v0, v72, s0 dst_sel:DWORD dst_unused:UNUSED_PAD src0_sel:WORD_0 src1_sel:DWORD
	v_lshrrev_b32_e32 v10, 18, v0
	v_mul_lo_u16_e32 v0, 13, v10
	v_sub_u16_e32 v11, v72, v0
	v_lshlrev_b16_e32 v0, 2, v11
	v_lshlrev_b32_e32 v0, 4, v0
	global_load_dwordx4 v[32:35], v0, s[6:7]
	global_load_dwordx4 v[28:31], v0, s[6:7] offset:16
	global_load_dwordx4 v[24:27], v0, s[6:7] offset:32
	;; [unrolled: 1-line block ×3, first 2 shown]
	v_mov_b32_e32 v0, 4
	v_lshlrev_b32_sdwa v210, v0, v226 dst_sel:DWORD dst_unused:UNUSED_PAD src0_sel:DWORD src1_sel:WORD_0
	ds_read_b128 v[40:43], v210
	ds_read_b128 v[36:39], v210 offset:3120
	ds_read_b128 v[0:3], v210 offset:6240
	;; [unrolled: 1-line block ×9, first 2 shown]
	s_mov_b32 s2, 0x134454ff
	s_mov_b32 s3, 0x3fee6f0e
	;; [unrolled: 1-line block ×10, first 2 shown]
	s_movk_i32 s22, 0x41
	s_waitcnt lgkmcnt(0)
	s_barrier
	s_movk_i32 s23, 0xfd
	s_waitcnt vmcnt(7)
	v_mul_f64 v[4:5], v[2:3], v[88:89]
	v_mul_f64 v[6:7], v[0:1], v[88:89]
	s_waitcnt vmcnt(6)
	v_mul_f64 v[74:75], v[50:51], v[22:23]
	s_waitcnt vmcnt(5)
	v_mul_f64 v[78:79], v[58:59], v[18:19]
	v_mul_f64 v[80:81], v[56:57], v[18:19]
	s_waitcnt vmcnt(4)
	v_mul_f64 v[82:83], v[66:67], v[14:15]
	v_mul_f64 v[84:85], v[64:65], v[14:15]
	v_fma_f64 v[4:5], v[0:1], v[86:87], -v[4:5]
	v_fmac_f64_e32 v[6:7], v[2:3], v[86:87]
	v_fma_f64 v[74:75], v[48:49], v[20:21], -v[74:75]
	v_fma_f64 v[56:57], v[56:57], v[16:17], -v[78:79]
	s_waitcnt vmcnt(3)
	v_mul_f64 v[0:1], v[46:47], v[34:35]
	s_waitcnt vmcnt(2)
	v_mul_f64 v[2:3], v[54:55], v[30:31]
	v_mul_f64 v[76:77], v[48:49], v[22:23]
	v_fmac_f64_e32 v[80:81], v[58:59], v[16:17]
	v_fma_f64 v[58:59], v[64:65], v[12:13], -v[82:83]
	v_fmac_f64_e32 v[84:85], v[66:67], v[12:13]
	v_mul_f64 v[78:79], v[44:45], v[34:35]
	s_waitcnt vmcnt(1)
	v_mul_f64 v[48:49], v[62:63], v[26:27]
	v_fma_f64 v[66:67], v[44:45], v[32:33], -v[0:1]
	v_fma_f64 v[90:91], v[52:53], v[28:29], -v[2:3]
	v_add_f64 v[0:1], v[40:41], v[4:5]
	v_add_f64 v[2:3], v[74:75], v[56:57]
	v_fmac_f64_e32 v[76:77], v[50:51], v[20:21]
	v_mul_f64 v[82:83], v[52:53], v[30:31]
	s_waitcnt vmcnt(0)
	v_mul_f64 v[50:51], v[70:71], v[98:99]
	v_fmac_f64_e32 v[78:79], v[46:47], v[32:33]
	v_fma_f64 v[92:93], v[60:61], v[24:25], -v[48:49]
	v_add_f64 v[46:47], v[6:7], -v[84:85]
	v_add_f64 v[44:45], v[4:5], -v[74:75]
	;; [unrolled: 1-line block ×3, first 2 shown]
	v_add_f64 v[52:53], v[0:1], v[74:75]
	v_fma_f64 v[0:1], -0.5, v[2:3], v[40:41]
	v_fma_f64 v[94:95], v[68:69], v[96:97], -v[50:51]
	v_add_f64 v[50:51], v[76:77], -v[80:81]
	v_add_f64 v[2:3], v[44:45], v[48:49]
	v_fma_f64 v[44:45], s[2:3], v[46:47], v[0:1]
	v_fmac_f64_e32 v[0:1], s[16:17], v[46:47]
	v_fmac_f64_e32 v[44:45], s[18:19], v[50:51]
	;; [unrolled: 1-line block ×5, first 2 shown]
	v_add_f64 v[2:3], v[4:5], v[58:59]
	v_fmac_f64_e32 v[40:41], -0.5, v[2:3]
	v_fmac_f64_e32 v[82:83], v[54:55], v[28:29]
	v_add_f64 v[48:49], v[52:53], v[56:57]
	v_fma_f64 v[52:53], s[16:17], v[50:51], v[40:41]
	v_add_f64 v[2:3], v[74:75], -v[4:5]
	v_add_f64 v[54:55], v[56:57], -v[58:59]
	v_fmac_f64_e32 v[40:41], s[2:3], v[50:51]
	v_fmac_f64_e32 v[52:53], s[18:19], v[46:47]
	v_add_f64 v[2:3], v[2:3], v[54:55]
	v_fmac_f64_e32 v[40:41], s[20:21], v[46:47]
	v_fmac_f64_e32 v[52:53], s[0:1], v[2:3]
	;; [unrolled: 1-line block ×3, first 2 shown]
	v_add_f64 v[2:3], v[42:43], v[6:7]
	v_add_f64 v[2:3], v[2:3], v[76:77]
	;; [unrolled: 1-line block ×5, first 2 shown]
	v_fma_f64 v[2:3], -0.5, v[2:3], v[42:43]
	v_add_f64 v[4:5], v[4:5], -v[58:59]
	v_add_f64 v[48:49], v[48:49], v[58:59]
	v_fma_f64 v[46:47], s[16:17], v[4:5], v[2:3]
	v_add_f64 v[56:57], v[74:75], -v[56:57]
	v_add_f64 v[54:55], v[6:7], -v[76:77]
	;; [unrolled: 1-line block ×3, first 2 shown]
	v_fmac_f64_e32 v[2:3], s[2:3], v[4:5]
	v_fmac_f64_e32 v[46:47], s[20:21], v[56:57]
	v_add_f64 v[54:55], v[54:55], v[58:59]
	v_fmac_f64_e32 v[2:3], s[18:19], v[56:57]
	v_fmac_f64_e32 v[46:47], s[0:1], v[54:55]
	;; [unrolled: 1-line block ×3, first 2 shown]
	v_add_f64 v[54:55], v[6:7], v[84:85]
	v_fmac_f64_e32 v[42:43], -0.5, v[54:55]
	v_fma_f64 v[54:55], s[2:3], v[56:57], v[42:43]
	v_fmac_f64_e32 v[42:43], s[16:17], v[56:57]
	v_fmac_f64_e32 v[54:55], s[20:21], v[4:5]
	;; [unrolled: 1-line block ×3, first 2 shown]
	v_add_f64 v[4:5], v[36:37], v[66:67]
	v_accvgpr_write_b32 a16, v86
	v_add_f64 v[4:5], v[4:5], v[90:91]
	v_accvgpr_write_b32 a17, v87
	v_accvgpr_write_b32 a18, v88
	;; [unrolled: 1-line block ×3, first 2 shown]
	v_mul_f64 v[88:89], v[68:69], v[98:99]
	v_add_f64 v[4:5], v[4:5], v[92:93]
	v_mul_f64 v[86:87], v[60:61], v[26:27]
	v_fmac_f64_e32 v[88:89], v[70:71], v[96:97]
	v_add_f64 v[6:7], v[76:77], -v[6:7]
	v_add_f64 v[58:59], v[80:81], -v[84:85]
	v_add_f64 v[56:57], v[4:5], v[94:95]
	v_add_f64 v[4:5], v[90:91], v[92:93]
	v_fmac_f64_e32 v[86:87], v[62:63], v[24:25]
	v_add_f64 v[6:7], v[6:7], v[58:59]
	v_fma_f64 v[60:61], -0.5, v[4:5], v[36:37]
	v_add_f64 v[4:5], v[78:79], -v[88:89]
	v_fmac_f64_e32 v[54:55], s[0:1], v[6:7]
	v_fmac_f64_e32 v[42:43], s[0:1], v[6:7]
	v_fma_f64 v[64:65], s[2:3], v[4:5], v[60:61]
	v_add_f64 v[6:7], v[82:83], -v[86:87]
	v_add_f64 v[58:59], v[66:67], -v[90:91]
	;; [unrolled: 1-line block ×3, first 2 shown]
	v_fmac_f64_e32 v[60:61], s[16:17], v[4:5]
	v_fmac_f64_e32 v[64:65], s[18:19], v[6:7]
	v_add_f64 v[58:59], v[58:59], v[62:63]
	v_fmac_f64_e32 v[60:61], s[20:21], v[6:7]
	v_fmac_f64_e32 v[64:65], s[0:1], v[58:59]
	;; [unrolled: 1-line block ×3, first 2 shown]
	v_add_f64 v[58:59], v[66:67], v[94:95]
	v_fmac_f64_e32 v[36:37], -0.5, v[58:59]
	v_fma_f64 v[68:69], s[16:17], v[6:7], v[36:37]
	v_fmac_f64_e32 v[36:37], s[2:3], v[6:7]
	v_fmac_f64_e32 v[68:69], s[18:19], v[4:5]
	;; [unrolled: 1-line block ×3, first 2 shown]
	v_add_f64 v[4:5], v[38:39], v[78:79]
	v_add_f64 v[58:59], v[90:91], -v[66:67]
	v_add_f64 v[62:63], v[92:93], -v[94:95]
	v_add_f64 v[4:5], v[4:5], v[82:83]
	v_add_f64 v[58:59], v[58:59], v[62:63]
	;; [unrolled: 1-line block ×3, first 2 shown]
	v_fmac_f64_e32 v[68:69], s[0:1], v[58:59]
	v_fmac_f64_e32 v[36:37], s[0:1], v[58:59]
	v_add_f64 v[58:59], v[4:5], v[88:89]
	v_add_f64 v[4:5], v[82:83], v[86:87]
	v_fma_f64 v[62:63], -0.5, v[4:5], v[38:39]
	v_add_f64 v[4:5], v[66:67], -v[94:95]
	v_fma_f64 v[66:67], s[16:17], v[4:5], v[62:63]
	v_add_f64 v[6:7], v[90:91], -v[92:93]
	v_add_f64 v[70:71], v[78:79], -v[82:83]
	;; [unrolled: 1-line block ×3, first 2 shown]
	v_fmac_f64_e32 v[62:63], s[2:3], v[4:5]
	v_fmac_f64_e32 v[66:67], s[20:21], v[6:7]
	v_add_f64 v[70:71], v[70:71], v[74:75]
	v_fmac_f64_e32 v[62:63], s[18:19], v[6:7]
	v_fmac_f64_e32 v[66:67], s[0:1], v[70:71]
	;; [unrolled: 1-line block ×3, first 2 shown]
	v_add_f64 v[70:71], v[78:79], v[88:89]
	v_fmac_f64_e32 v[38:39], -0.5, v[70:71]
	v_fma_f64 v[70:71], s[2:3], v[6:7], v[38:39]
	v_fmac_f64_e32 v[38:39], s[16:17], v[6:7]
	v_fmac_f64_e32 v[70:71], s[20:21], v[4:5]
	v_fmac_f64_e32 v[38:39], s[18:19], v[4:5]
	v_mul_u32_u24_e32 v4, 0x41, v8
	v_add_lshl_u32 v229, v4, v9, 4
	ds_write_b128 v229, v[48:51]
	ds_write_b128 v229, v[44:47] offset:208
	ds_write_b128 v229, v[52:55] offset:416
	;; [unrolled: 1-line block ×4, first 2 shown]
	v_mad_legacy_u16 v0, v10, s22, v11
	v_lshlrev_b32_e32 v232, 4, v0
	v_mul_lo_u16_sdwa v0, v226, s23 dst_sel:DWORD dst_unused:UNUSED_PAD src0_sel:BYTE_0 src1_sel:DWORD
	v_lshrrev_b16_e32 v8, 14, v0
	v_mul_lo_u16_e32 v0, 0x41, v8
	v_add_f64 v[74:75], v[82:83], -v[78:79]
	v_add_f64 v[76:77], v[86:87], -v[88:89]
	v_sub_u16_e32 v0, v226, v0
	v_add_f64 v[74:75], v[74:75], v[76:77]
	v_and_b32_e32 v9, 0xff, v0
	s_movk_i32 s23, 0x90
	v_mov_b64_e32 v[0:1], s[6:7]
	v_fmac_f64_e32 v[38:39], s[0:1], v[74:75]
	v_mad_u64_u32 v[0:1], s[24:25], v9, s23, v[0:1]
	v_fmac_f64_e32 v[70:71], s[0:1], v[74:75]
	ds_write_b128 v232, v[56:59]
	ds_write_b128 v232, v[64:67] offset:208
	ds_write_b128 v232, v[68:71] offset:416
	;; [unrolled: 1-line block ×4, first 2 shown]
	s_waitcnt lgkmcnt(0)
	s_barrier
	global_load_dwordx4 v[48:51], v[0:1], off offset:832
	global_load_dwordx4 v[44:47], v[0:1], off offset:848
	;; [unrolled: 1-line block ×9, first 2 shown]
	v_accvgpr_write_b32 a20, v96
	v_accvgpr_write_b32 a21, v97
	;; [unrolled: 1-line block ×4, first 2 shown]
	ds_read_b128 v[68:71], v210
	ds_read_b128 v[0:3], v210 offset:3120
	ds_read_b128 v[80:83], v210 offset:6240
	;; [unrolled: 1-line block ×9, first 2 shown]
	s_mov_b32 s24, 0x9b97f4a8
	s_mov_b32 s25, 0x3fe9e377
	s_waitcnt lgkmcnt(0)
	s_barrier
	v_accvgpr_write_b32 a12, v20
	v_accvgpr_write_b32 a8, v16
	;; [unrolled: 1-line block ×12, first 2 shown]
	s_waitcnt vmcnt(8)
	v_mul_f64 v[4:5], v[2:3], v[50:51]
	v_mul_f64 v[6:7], v[0:1], v[50:51]
	v_fma_f64 v[4:5], v[0:1], v[48:49], -v[4:5]
	v_fmac_f64_e32 v[6:7], v[2:3], v[48:49]
	s_waitcnt vmcnt(7)
	v_mul_f64 v[0:1], v[82:83], v[46:47]
	v_mul_f64 v[2:3], v[80:81], v[46:47]
	s_waitcnt vmcnt(6)
	v_mul_f64 v[74:75], v[86:87], v[42:43]
	v_fma_f64 v[0:1], v[80:81], v[44:45], -v[0:1]
	v_fmac_f64_e32 v[2:3], v[82:83], v[44:45]
	v_fma_f64 v[74:75], v[84:85], v[40:41], -v[74:75]
	v_mul_f64 v[80:81], v[84:85], v[42:43]
	s_waitcnt vmcnt(5)
	v_mul_f64 v[82:83], v[90:91], v[38:39]
	v_mul_f64 v[84:85], v[88:89], v[38:39]
	v_fmac_f64_e32 v[80:81], v[86:87], v[40:41]
	v_fma_f64 v[82:83], v[88:89], v[36:37], -v[82:83]
	v_fmac_f64_e32 v[84:85], v[90:91], v[36:37]
	s_waitcnt vmcnt(4)
	v_mul_f64 v[86:87], v[94:95], v[66:67]
	v_mul_f64 v[88:89], v[92:93], v[66:67]
	s_waitcnt vmcnt(3)
	v_mul_f64 v[90:91], v[98:99], v[62:63]
	v_fma_f64 v[86:87], v[92:93], v[64:65], -v[86:87]
	v_fmac_f64_e32 v[88:89], v[94:95], v[64:65]
	v_fma_f64 v[90:91], v[96:97], v[60:61], -v[90:91]
	v_mul_f64 v[92:93], v[96:97], v[62:63]
	s_waitcnt vmcnt(2)
	v_mul_f64 v[94:95], v[102:103], v[58:59]
	v_mul_f64 v[96:97], v[100:101], v[58:59]
	v_fmac_f64_e32 v[92:93], v[98:99], v[60:61]
	v_fma_f64 v[94:95], v[100:101], v[56:57], -v[94:95]
	v_fmac_f64_e32 v[96:97], v[102:103], v[56:57]
	s_waitcnt vmcnt(1)
	v_mul_f64 v[98:99], v[114:115], v[54:55]
	v_mul_f64 v[100:101], v[112:113], v[54:55]
	s_waitcnt vmcnt(0)
	v_mul_f64 v[102:103], v[118:119], v[78:79]
	v_fma_f64 v[98:99], v[112:113], v[52:53], -v[98:99]
	v_fmac_f64_e32 v[100:101], v[114:115], v[52:53]
	v_fma_f64 v[102:103], v[116:117], v[76:77], -v[102:103]
	v_mul_f64 v[112:113], v[116:117], v[78:79]
	v_add_f64 v[116:117], v[82:83], v[90:91]
	v_fmac_f64_e32 v[112:113], v[118:119], v[76:77]
	v_fma_f64 v[116:117], -0.5, v[116:117], v[68:69]
	v_add_f64 v[118:119], v[2:3], -v[100:101]
	v_fma_f64 v[120:121], s[2:3], v[118:119], v[116:117]
	v_add_f64 v[122:123], v[84:85], -v[92:93]
	v_add_f64 v[124:125], v[0:1], -v[82:83]
	;; [unrolled: 1-line block ×3, first 2 shown]
	v_fmac_f64_e32 v[116:117], s[16:17], v[118:119]
	v_fmac_f64_e32 v[120:121], s[18:19], v[122:123]
	v_add_f64 v[124:125], v[124:125], v[126:127]
	v_fmac_f64_e32 v[116:117], s[20:21], v[122:123]
	v_fmac_f64_e32 v[120:121], s[0:1], v[124:125]
	;; [unrolled: 1-line block ×3, first 2 shown]
	v_add_f64 v[124:125], v[0:1], v[98:99]
	v_add_f64 v[114:115], v[68:69], v[0:1]
	v_fmac_f64_e32 v[68:69], -0.5, v[124:125]
	v_add_f64 v[114:115], v[114:115], v[82:83]
	v_fma_f64 v[124:125], s[16:17], v[122:123], v[68:69]
	v_add_f64 v[126:127], v[82:83], -v[0:1]
	v_add_f64 v[128:129], v[90:91], -v[98:99]
	v_fmac_f64_e32 v[68:69], s[2:3], v[122:123]
	v_add_f64 v[122:123], v[84:85], v[92:93]
	v_add_f64 v[114:115], v[114:115], v[90:91]
	v_fmac_f64_e32 v[124:125], s[18:19], v[118:119]
	v_add_f64 v[126:127], v[126:127], v[128:129]
	v_fmac_f64_e32 v[68:69], s[20:21], v[118:119]
	v_fma_f64 v[122:123], -0.5, v[122:123], v[70:71]
	v_add_f64 v[0:1], v[0:1], -v[98:99]
	v_add_f64 v[114:115], v[114:115], v[98:99]
	v_fmac_f64_e32 v[124:125], s[0:1], v[126:127]
	v_fmac_f64_e32 v[68:69], s[0:1], v[126:127]
	v_fma_f64 v[126:127], s[16:17], v[0:1], v[122:123]
	v_add_f64 v[82:83], v[82:83], -v[90:91]
	v_add_f64 v[90:91], v[2:3], -v[84:85]
	;; [unrolled: 1-line block ×3, first 2 shown]
	v_fmac_f64_e32 v[122:123], s[2:3], v[0:1]
	v_fmac_f64_e32 v[126:127], s[20:21], v[82:83]
	v_add_f64 v[90:91], v[90:91], v[98:99]
	v_fmac_f64_e32 v[122:123], s[18:19], v[82:83]
	v_fmac_f64_e32 v[126:127], s[0:1], v[90:91]
	;; [unrolled: 1-line block ×3, first 2 shown]
	v_add_f64 v[90:91], v[2:3], v[100:101]
	v_add_f64 v[118:119], v[70:71], v[2:3]
	v_fmac_f64_e32 v[70:71], -0.5, v[90:91]
	v_fma_f64 v[128:129], s[2:3], v[82:83], v[70:71]
	v_fmac_f64_e32 v[70:71], s[16:17], v[82:83]
	v_fmac_f64_e32 v[128:129], s[20:21], v[0:1]
	;; [unrolled: 1-line block ×3, first 2 shown]
	v_add_f64 v[0:1], v[4:5], v[74:75]
	v_add_f64 v[0:1], v[0:1], v[86:87]
	;; [unrolled: 1-line block ×5, first 2 shown]
	v_add_f64 v[2:3], v[84:85], -v[2:3]
	v_add_f64 v[84:85], v[92:93], -v[100:101]
	v_add_f64 v[98:99], v[0:1], v[102:103]
	v_add_f64 v[0:1], v[86:87], v[94:95]
	;; [unrolled: 1-line block ×4, first 2 shown]
	v_fma_f64 v[100:101], -0.5, v[0:1], v[4:5]
	v_add_f64 v[0:1], v[80:81], -v[112:113]
	v_fmac_f64_e32 v[128:129], s[0:1], v[2:3]
	v_fmac_f64_e32 v[70:71], s[0:1], v[2:3]
	v_fma_f64 v[82:83], s[2:3], v[0:1], v[100:101]
	v_add_f64 v[2:3], v[88:89], -v[96:97]
	v_add_f64 v[84:85], v[74:75], -v[86:87]
	v_add_f64 v[90:91], v[102:103], -v[94:95]
	v_fmac_f64_e32 v[100:101], s[16:17], v[0:1]
	v_fmac_f64_e32 v[82:83], s[18:19], v[2:3]
	v_add_f64 v[84:85], v[84:85], v[90:91]
	v_fmac_f64_e32 v[100:101], s[20:21], v[2:3]
	v_fmac_f64_e32 v[82:83], s[0:1], v[84:85]
	v_fmac_f64_e32 v[100:101], s[0:1], v[84:85]
	v_add_f64 v[84:85], v[74:75], v[102:103]
	v_fmac_f64_e32 v[4:5], -0.5, v[84:85]
	v_fma_f64 v[90:91], s[16:17], v[2:3], v[4:5]
	v_fmac_f64_e32 v[4:5], s[2:3], v[2:3]
	v_fmac_f64_e32 v[90:91], s[18:19], v[0:1]
	v_fmac_f64_e32 v[4:5], s[20:21], v[0:1]
	v_add_f64 v[0:1], v[6:7], v[80:81]
	v_add_f64 v[0:1], v[0:1], v[88:89]
	;; [unrolled: 1-line block ×3, first 2 shown]
	v_add_f64 v[84:85], v[86:87], -v[74:75]
	v_add_f64 v[92:93], v[94:95], -v[102:103]
	v_add_f64 v[130:131], v[0:1], v[112:113]
	v_add_f64 v[0:1], v[88:89], v[96:97]
	;; [unrolled: 1-line block ×3, first 2 shown]
	v_fma_f64 v[132:133], -0.5, v[0:1], v[6:7]
	v_add_f64 v[0:1], v[74:75], -v[102:103]
	v_fmac_f64_e32 v[90:91], s[0:1], v[84:85]
	v_fmac_f64_e32 v[4:5], s[0:1], v[84:85]
	v_fma_f64 v[74:75], s[16:17], v[0:1], v[132:133]
	v_add_f64 v[2:3], v[86:87], -v[94:95]
	v_add_f64 v[84:85], v[80:81], -v[88:89]
	;; [unrolled: 1-line block ×3, first 2 shown]
	v_fmac_f64_e32 v[132:133], s[2:3], v[0:1]
	v_fmac_f64_e32 v[74:75], s[20:21], v[2:3]
	v_add_f64 v[84:85], v[84:85], v[86:87]
	v_fmac_f64_e32 v[132:133], s[18:19], v[2:3]
	v_fmac_f64_e32 v[74:75], s[0:1], v[84:85]
	;; [unrolled: 1-line block ×3, first 2 shown]
	v_add_f64 v[84:85], v[80:81], v[112:113]
	v_fmac_f64_e32 v[6:7], -0.5, v[84:85]
	v_fma_f64 v[86:87], s[2:3], v[2:3], v[6:7]
	v_add_f64 v[80:81], v[88:89], -v[80:81]
	v_add_f64 v[84:85], v[96:97], -v[112:113]
	v_fmac_f64_e32 v[6:7], s[16:17], v[2:3]
	v_add_f64 v[80:81], v[80:81], v[84:85]
	v_fmac_f64_e32 v[6:7], s[18:19], v[0:1]
	v_fmac_f64_e32 v[86:87], s[20:21], v[0:1]
	;; [unrolled: 1-line block ×3, first 2 shown]
	v_mul_f64 v[2:3], v[4:5], s[0:1]
	v_fmac_f64_e32 v[86:87], s[0:1], v[80:81]
	v_fma_f64 v[134:135], v[6:7], s[2:3], -v[2:3]
	v_mul_f64 v[138:139], v[82:83], s[20:21]
	v_mul_f64 v[6:7], v[6:7], s[0:1]
	;; [unrolled: 1-line block ×4, first 2 shown]
	v_fmac_f64_e32 v[138:139], s[24:25], v[74:75]
	v_mul_f64 v[74:75], v[90:91], s[16:17]
	v_fma_f64 v[4:5], v[4:5], s[16:17], -v[6:7]
	v_fmac_f64_e32 v[112:113], s[0:1], v[90:91]
	v_mul_f64 v[2:3], v[100:101], s[24:25]
	v_fmac_f64_e32 v[74:75], s[0:1], v[86:87]
	v_add_f64 v[90:91], v[70:71], v[4:5]
	v_mul_f64 v[6:7], v[132:133], s[24:25]
	v_add_f64 v[70:71], v[70:71], -v[4:5]
	v_mul_u32_u24_e32 v4, 0x28a, v8
	v_add_f64 v[0:1], v[114:115], v[98:99]
	v_fmac_f64_e32 v[102:103], s[24:25], v[82:83]
	v_add_f64 v[84:85], v[124:125], v[112:113]
	v_fma_f64 v[136:137], v[132:133], s[18:19], -v[2:3]
	v_add_f64 v[2:3], v[118:119], v[130:131]
	v_fma_f64 v[6:7], v[100:101], s[20:21], -v[6:7]
	v_add_f64 v[96:97], v[114:115], -v[98:99]
	v_add_f64 v[112:113], v[124:125], -v[112:113]
	;; [unrolled: 1-line block ×3, first 2 shown]
	v_add_lshl_u32 v211, v4, v9, 4
	v_add_f64 v[80:81], v[120:121], v[102:103]
	v_add_f64 v[88:89], v[68:69], v[134:135]
	;; [unrolled: 1-line block ×6, first 2 shown]
	v_add_f64 v[100:101], v[120:121], -v[102:103]
	v_add_f64 v[68:69], v[68:69], -v[134:135]
	v_add_f64 v[116:117], v[116:117], -v[136:137]
	v_add_f64 v[98:99], v[118:119], -v[130:131]
	v_add_f64 v[102:103], v[126:127], -v[138:139]
	v_add_f64 v[118:119], v[122:123], -v[6:7]
	ds_write_b128 v211, v[0:3]
	ds_write_b128 v211, v[80:83] offset:1040
	ds_write_b128 v211, v[84:87] offset:2080
	;; [unrolled: 1-line block ×9, first 2 shown]
	s_waitcnt lgkmcnt(0)
	s_barrier
	ds_read_b128 v[112:115], v210
	ds_read_b128 v[120:123], v210 offset:3120
	ds_read_b128 v[140:143], v210 offset:20800
	ds_read_b128 v[136:139], v210 offset:23920
	ds_read_b128 v[148:151], v210 offset:10400
	ds_read_b128 v[124:127], v210 offset:6240
	ds_read_b128 v[144:147], v210 offset:13520
	ds_read_b128 v[132:135], v210 offset:16640
	ds_read_b128 v[128:131], v210 offset:27040
	v_cmp_gt_u16_e64 s[2:3], s22, v226
	s_and_saveexec_b64 s[0:1], s[2:3]
	s_cbranch_execz .LBB0_9
; %bb.8:
	ds_read_b128 v[116:119], v210 offset:9360
	ds_read_b128 v[108:111], v210 offset:19760
	;; [unrolled: 1-line block ×3, first 2 shown]
.LBB0_9:
	s_or_b64 exec, exec, s[0:1]
	v_lshlrev_b32_e32 v0, 5, v226
	s_mov_b64 s[0:1], 0x249
	v_mov_b32_e32 v1, 0
	v_lshl_add_u64 v[2:3], v[226:227], 0, s[0:1]
	v_lshl_add_u64 v[4:5], s[6:7], 0, v[0:1]
	s_mov_b64 s[0:1], 0x27d0
	s_movk_i32 s18, 0x2000
	v_lshl_add_u64 v[6:7], v[4:5], 0, s[0:1]
	v_add_co_u32_e32 v4, vcc, s18, v4
	v_add_u32_e32 v0, 0x30c0, v0
	s_nop 0
	v_addc_co_u32_e32 v5, vcc, 0, v5, vcc
	global_load_dwordx4 v[80:83], v[4:5], off offset:2000
	global_load_dwordx4 v[84:87], v[6:7], off offset:16
	v_lshlrev_b64 v[4:5], 5, v[72:73]
	v_lshl_add_u64 v[4:5], s[6:7], 0, v[4:5]
	v_add_co_u32_e32 v6, vcc, s18, v4
	v_lshl_add_u64 v[0:1], s[6:7], 0, v[0:1]
	s_nop 0
	v_addc_co_u32_e32 v7, vcc, 0, v5, vcc
	v_lshl_add_u64 v[4:5], v[4:5], 0, s[0:1]
	global_load_dwordx4 v[88:91], v[6:7], off offset:2000
	global_load_dwordx4 v[92:95], v[4:5], off offset:16
	v_lshl_add_u64 v[4:5], v[0:1], 0, s[0:1]
	v_add_co_u32_e32 v0, vcc, s18, v0
	s_movk_i32 s16, 0xffbf
	s_nop 0
	v_addc_co_u32_e32 v1, vcc, 0, v1, vcc
	s_mov_b32 s17, -1
	global_load_dwordx4 v[96:99], v[0:1], off offset:2000
	global_load_dwordx4 v[100:103], v[4:5], off offset:16
	v_lshl_add_u64 v[0:1], v[226:227], 0, s[16:17]
	v_cndmask_b32_e64 v1, v1, v3, s[2:3]
	v_cndmask_b32_e64 v0, v0, v2, s[2:3]
	v_lshlrev_b64 v[0:1], 5, v[0:1]
	v_lshl_add_u64 v[0:1], s[6:7], 0, v[0:1]
	v_add_co_u32_e32 v2, vcc, s18, v0
	s_mov_b32 s7, 0xbfebb67a
	s_nop 0
	v_addc_co_u32_e32 v3, vcc, 0, v1, vcc
	v_lshl_add_u64 v[0:1], v[0:1], 0, s[0:1]
	global_load_dwordx4 v[8:11], v[2:3], off offset:2000
	global_load_dwordx4 v[12:15], v[0:1], off offset:16
	s_mov_b32 s0, 0xe8584caa
	s_mov_b32 s1, 0x3febb67a
	s_mov_b32 s6, s0
	s_waitcnt vmcnt(7) lgkmcnt(4)
	v_mul_f64 v[0:1], v[150:151], v[82:83]
	v_mul_f64 v[2:3], v[148:149], v[82:83]
	s_waitcnt vmcnt(6)
	v_mul_f64 v[4:5], v[142:143], v[86:87]
	v_mul_f64 v[6:7], v[140:141], v[86:87]
	v_fma_f64 v[0:1], v[148:149], v[80:81], -v[0:1]
	v_fmac_f64_e32 v[2:3], v[150:151], v[80:81]
	v_fma_f64 v[4:5], v[140:141], v[84:85], -v[4:5]
	v_fmac_f64_e32 v[6:7], v[142:143], v[84:85]
	s_waitcnt vmcnt(5) lgkmcnt(2)
	v_mul_f64 v[68:69], v[146:147], v[90:91]
	s_waitcnt vmcnt(4)
	v_mul_f64 v[72:73], v[138:139], v[94:95]
	v_mul_f64 v[74:75], v[136:137], v[94:95]
	v_fma_f64 v[72:73], v[136:137], v[92:93], -v[72:73]
	v_fmac_f64_e32 v[74:75], v[138:139], v[92:93]
	v_fma_f64 v[68:69], v[144:145], v[88:89], -v[68:69]
	v_mul_f64 v[70:71], v[144:145], v[90:91]
	v_fmac_f64_e32 v[70:71], v[146:147], v[88:89]
	s_waitcnt vmcnt(3) lgkmcnt(1)
	v_mul_f64 v[136:137], v[134:135], v[98:99]
	v_mul_f64 v[150:151], v[132:133], v[98:99]
	s_waitcnt vmcnt(2) lgkmcnt(0)
	v_mul_f64 v[152:153], v[128:129], v[102:103]
	v_mul_f64 v[138:139], v[130:131], v[102:103]
	v_fma_f64 v[154:155], v[132:133], v[96:97], -v[136:137]
	v_fmac_f64_e32 v[150:151], v[134:135], v[96:97]
	v_fmac_f64_e32 v[152:153], v[130:131], v[100:101]
	v_add_f64 v[130:131], v[0:1], v[4:5]
	v_add_f64 v[134:135], v[2:3], -v[6:7]
	v_fma_f64 v[156:157], v[128:129], v[100:101], -v[138:139]
	v_add_f64 v[128:129], v[112:113], v[0:1]
	v_fmac_f64_e32 v[112:113], -0.5, v[130:131]
	v_add_f64 v[0:1], v[0:1], -v[4:5]
	s_waitcnt vmcnt(1)
	v_mul_f64 v[132:133], v[110:111], v[10:11]
	s_waitcnt vmcnt(0)
	v_mul_f64 v[160:161], v[104:105], v[14:15]
	v_mul_f64 v[136:137], v[106:107], v[14:15]
	v_fmac_f64_e32 v[160:161], v[106:107], v[12:13]
	v_add_f64 v[106:107], v[114:115], v[2:3]
	v_add_f64 v[2:3], v[2:3], v[6:7]
	v_fmac_f64_e32 v[114:115], -0.5, v[2:3]
	v_mul_f64 v[158:159], v[108:109], v[10:11]
	v_fma_f64 v[108:109], v[108:109], v[8:9], -v[132:133]
	v_fma_f64 v[132:133], s[0:1], v[134:135], v[112:113]
	v_fmac_f64_e32 v[112:113], s[6:7], v[134:135]
	v_fma_f64 v[134:135], s[6:7], v[0:1], v[114:115]
	v_fmac_f64_e32 v[114:115], s[0:1], v[0:1]
	v_add_f64 v[0:1], v[120:121], v[68:69]
	v_fma_f64 v[104:105], v[104:105], v[12:13], -v[136:137]
	v_add_f64 v[136:137], v[0:1], v[72:73]
	v_add_f64 v[0:1], v[68:69], v[72:73]
	v_fmac_f64_e32 v[120:121], -0.5, v[0:1]
	v_add_f64 v[0:1], v[70:71], -v[74:75]
	v_fma_f64 v[140:141], s[0:1], v[0:1], v[120:121]
	v_fmac_f64_e32 v[120:121], s[6:7], v[0:1]
	v_add_f64 v[0:1], v[122:123], v[70:71]
	v_add_f64 v[138:139], v[0:1], v[74:75]
	v_add_f64 v[0:1], v[70:71], v[74:75]
	v_fmac_f64_e32 v[122:123], -0.5, v[0:1]
	v_add_f64 v[0:1], v[68:69], -v[72:73]
	v_fma_f64 v[142:143], s[6:7], v[0:1], v[122:123]
	v_fmac_f64_e32 v[122:123], s[0:1], v[0:1]
	v_add_f64 v[0:1], v[124:125], v[154:155]
	;; [unrolled: 7-line block ×4, first 2 shown]
	v_fmac_f64_e32 v[158:159], v[110:111], v[8:9]
	v_add_f64 v[152:153], v[0:1], v[104:105]
	v_add_f64 v[0:1], v[108:109], v[104:105]
	v_fmac_f64_e32 v[116:117], -0.5, v[0:1]
	v_add_f64 v[0:1], v[158:159], -v[160:161]
	v_fma_f64 v[156:157], s[0:1], v[0:1], v[116:117]
	v_fmac_f64_e32 v[116:117], s[6:7], v[0:1]
	v_add_f64 v[0:1], v[118:119], v[158:159]
	v_add_f64 v[154:155], v[0:1], v[160:161]
	;; [unrolled: 1-line block ×3, first 2 shown]
	v_accvgpr_write_b32 a27, v11
	v_accvgpr_write_b32 a31, v15
	v_fmac_f64_e32 v[118:119], -0.5, v[0:1]
	v_add_f64 v[0:1], v[108:109], -v[104:105]
	v_add_f64 v[128:129], v[128:129], v[4:5]
	v_accvgpr_write_b32 a26, v10
	v_accvgpr_write_b32 a25, v9
	;; [unrolled: 1-line block ×6, first 2 shown]
	v_add_f64 v[130:131], v[106:107], v[6:7]
	v_fma_f64 v[158:159], s[6:7], v[0:1], v[118:119]
	v_fmac_f64_e32 v[118:119], s[0:1], v[0:1]
	ds_write_b128 v210, v[128:131]
	ds_write_b128 v210, v[132:135] offset:10400
	ds_write_b128 v210, v[112:115] offset:20800
	;; [unrolled: 1-line block ×8, first 2 shown]
	s_and_saveexec_b64 s[0:1], s[2:3]
	s_cbranch_execz .LBB0_11
; %bb.10:
	ds_write_b128 v210, v[152:155] offset:9360
	ds_write_b128 v210, v[156:159] offset:19760
	;; [unrolled: 1-line block ×3, first 2 shown]
.LBB0_11:
	s_or_b64 exec, exec, s[0:1]
	s_waitcnt lgkmcnt(0)
	s_barrier
	s_and_saveexec_b64 s[0:1], s[4:5]
	s_cbranch_execz .LBB0_13
; %bb.12:
	v_mov_b32_e32 v0, v181
	v_mov_b32_e32 v181, 0
	v_lshl_add_u64 v[176:177], s[14:15], 0, v[180:181]
	s_mov_b64 s[6:7], 0x79e0
	v_add_co_u32_e32 v2, vcc, 0x7000, v176
	v_mov_b32_e32 v181, v0
	v_lshl_add_u64 v[0:1], v[176:177], 0, s[6:7]
	v_addc_co_u32_e32 v3, vcc, 0, v177, vcc
	s_mov_b32 s6, 0x8000
	global_load_dwordx4 v[104:107], v[2:3], off offset:2528
	global_load_dwordx4 v[108:111], v[0:1], off offset:2400
	v_add_co_u32_e32 v0, vcc, s6, v176
	s_mov_b32 s6, 0x9000
	s_nop 0
	v_addc_co_u32_e32 v1, vcc, 0, v177, vcc
	v_add_co_u32_e32 v2, vcc, s6, v176
	s_mov_b32 s6, 0xa000
	s_nop 0
	v_addc_co_u32_e32 v3, vcc, 0, v177, vcc
	global_load_dwordx4 v[160:163], v[0:1], off offset:3232
	global_load_dwordx4 v[164:167], v[2:3], off offset:1536
	;; [unrolled: 1-line block ×3, first 2 shown]
	v_add_co_u32_e32 v0, vcc, s6, v176
	s_mov_b32 s6, 0xb000
	s_nop 0
	v_addc_co_u32_e32 v1, vcc, 0, v177, vcc
	global_load_dwordx4 v[172:175], v[0:1], off offset:2240
	v_add_co_u32_e32 v4, vcc, s6, v176
	s_mov_b32 s6, 0xc000
	s_nop 0
	v_addc_co_u32_e32 v5, vcc, 0, v177, vcc
	global_load_dwordx4 v[68:71], v[4:5], off offset:2944
	global_load_dwordx4 v[0:3], v[4:5], off offset:544
	v_add_co_u32_e32 v4, vcc, s6, v176
	s_mov_b32 s6, 0xd000
	s_nop 0
	v_addc_co_u32_e32 v5, vcc, 0, v177, vcc
	global_load_dwordx4 v[72:75], v[4:5], off offset:1248
	;; [unrolled: 6-line block ×3, first 2 shown]
	v_add_co_u32_e32 v4, vcc, s6, v176
	s_nop 1
	v_addc_co_u32_e32 v5, vcc, 0, v177, vcc
	global_load_dwordx4 v[176:179], v[4:5], off offset:256
	global_load_dwordx4 v[190:193], v[4:5], off offset:2656
	ds_read_b128 v[194:197], v210
	s_waitcnt vmcnt(12) lgkmcnt(0)
	v_mul_f64 v[4:5], v[196:197], v[106:107]
	v_mul_f64 v[200:201], v[194:195], v[106:107]
	v_fma_f64 v[198:199], v[194:195], v[104:105], -v[4:5]
	v_fmac_f64_e32 v[200:201], v[196:197], v[104:105]
	ds_write_b128 v210, v[198:201]
	ds_read_b128 v[104:107], v180 offset:2400
	ds_read_b128 v[194:197], v180 offset:4800
	;; [unrolled: 1-line block ×6, first 2 shown]
	s_waitcnt vmcnt(11) lgkmcnt(5)
	v_mul_f64 v[4:5], v[106:107], v[110:111]
	v_mul_f64 v[218:219], v[104:105], v[110:111]
	v_fma_f64 v[216:217], v[104:105], v[108:109], -v[4:5]
	v_fmac_f64_e32 v[218:219], v[106:107], v[108:109]
	s_waitcnt vmcnt(10) lgkmcnt(4)
	v_mul_f64 v[6:7], v[196:197], v[162:163]
	v_mul_f64 v[110:111], v[194:195], v[162:163]
	s_waitcnt vmcnt(9) lgkmcnt(3)
	v_mul_f64 v[220:221], v[200:201], v[166:167]
	v_mul_f64 v[162:163], v[198:199], v[166:167]
	;; [unrolled: 3-line block ×3, first 2 shown]
	v_fma_f64 v[108:109], v[194:195], v[160:161], -v[6:7]
	v_fmac_f64_e32 v[110:111], v[196:197], v[160:161]
	s_waitcnt vmcnt(7) lgkmcnt(1)
	v_mul_f64 v[224:225], v[208:209], v[174:175]
	v_mul_f64 v[170:171], v[206:207], v[174:175]
	v_fma_f64 v[160:161], v[198:199], v[164:165], -v[220:221]
	v_fmac_f64_e32 v[162:163], v[200:201], v[164:165]
	v_fma_f64 v[164:165], v[202:203], v[168:169], -v[222:223]
	v_fmac_f64_e32 v[166:167], v[204:205], v[168:169]
	;; [unrolled: 2-line block ×3, first 2 shown]
	ds_write_b128 v180, v[216:219] offset:2400
	ds_write_b128 v180, v[108:111] offset:4800
	;; [unrolled: 1-line block ×5, first 2 shown]
	ds_read_b128 v[108:111], v180 offset:16800
	s_waitcnt vmcnt(5) lgkmcnt(6)
	v_mul_f64 v[4:5], v[214:215], v[2:3]
	v_mul_f64 v[106:107], v[212:213], v[2:3]
	v_fma_f64 v[104:105], v[212:213], v[0:1], -v[4:5]
	v_fmac_f64_e32 v[106:107], v[214:215], v[0:1]
	ds_read_b128 v[0:3], v180 offset:19200
	ds_write_b128 v180, v[104:107] offset:14400
	s_waitcnt lgkmcnt(2)
	v_mul_f64 v[4:5], v[110:111], v[70:71]
	v_mul_f64 v[106:107], v[108:109], v[70:71]
	v_fma_f64 v[104:105], v[108:109], v[68:69], -v[4:5]
	v_fmac_f64_e32 v[106:107], v[110:111], v[68:69]
	ds_write_b128 v180, v[104:107] offset:16800
	ds_read_b128 v[104:107], v180 offset:21600
	s_waitcnt vmcnt(4) lgkmcnt(3)
	v_mul_f64 v[4:5], v[2:3], v[74:75]
	v_mul_f64 v[70:71], v[0:1], v[74:75]
	v_fma_f64 v[68:69], v[0:1], v[72:73], -v[4:5]
	v_fmac_f64_e32 v[70:71], v[2:3], v[72:73]
	ds_read_b128 v[0:3], v180 offset:24000
	ds_write_b128 v180, v[68:71] offset:19200
	s_waitcnt vmcnt(3) lgkmcnt(2)
	v_mul_f64 v[4:5], v[106:107], v[184:185]
	v_mul_f64 v[70:71], v[104:105], v[184:185]
	v_fma_f64 v[68:69], v[104:105], v[182:183], -v[4:5]
	v_fmac_f64_e32 v[70:71], v[106:107], v[182:183]
	ds_read_b128 v[72:75], v180 offset:26400
	ds_write_b128 v180, v[68:71] offset:21600
	s_waitcnt vmcnt(2) lgkmcnt(3)
	v_mul_f64 v[4:5], v[2:3], v[188:189]
	v_mul_f64 v[70:71], v[0:1], v[188:189]
	v_fma_f64 v[68:69], v[0:1], v[186:187], -v[4:5]
	v_fmac_f64_e32 v[70:71], v[2:3], v[186:187]
	ds_read_b128 v[0:3], v180 offset:28800
	ds_write_b128 v180, v[68:71] offset:24000
	s_waitcnt vmcnt(1) lgkmcnt(3)
	v_mul_f64 v[4:5], v[74:75], v[178:179]
	v_mul_f64 v[70:71], v[72:73], v[178:179]
	v_fma_f64 v[68:69], v[72:73], v[176:177], -v[4:5]
	v_fmac_f64_e32 v[70:71], v[74:75], v[176:177]
	ds_write_b128 v180, v[68:71] offset:26400
	s_waitcnt vmcnt(0) lgkmcnt(2)
	v_mul_f64 v[4:5], v[2:3], v[192:193]
	v_mul_f64 v[70:71], v[0:1], v[192:193]
	v_fma_f64 v[68:69], v[0:1], v[190:191], -v[4:5]
	v_fmac_f64_e32 v[70:71], v[2:3], v[190:191]
	ds_write_b128 v180, v[68:71] offset:28800
.LBB0_13:
	s_or_b64 exec, exec, s[0:1]
	s_waitcnt lgkmcnt(0)
	s_barrier
	s_and_saveexec_b64 s[0:1], s[4:5]
	s_cbranch_execz .LBB0_15
; %bb.14:
	ds_read_b128 v[128:131], v210
	ds_read_b128 v[132:135], v210 offset:2400
	ds_read_b128 v[112:115], v210 offset:4800
	;; [unrolled: 1-line block ×12, first 2 shown]
.LBB0_15:
	s_or_b64 exec, exec, s[0:1]
	s_mov_b32 s16, 0x42a4c3d2
	s_waitcnt lgkmcnt(0)
	v_add_f64 v[190:191], v[134:135], -v[250:251]
	s_mov_b32 s0, 0x1ea71119
	s_mov_b32 s17, 0xbfea55e2
	;; [unrolled: 1-line block ×3, first 2 shown]
	v_add_f64 v[186:187], v[132:133], v[248:249]
	v_add_f64 v[188:189], v[134:135], v[250:251]
	s_mov_b32 s1, 0x3fe22d96
	v_mul_f64 v[8:9], v[190:191], s[16:17]
	s_mov_b32 s22, 0x66966769
	v_add_f64 v[198:199], v[114:115], -v[118:119]
	s_mov_b32 s18, 0xb2365da1
	s_mov_b32 s27, 0xbfedeba7
	v_add_f64 v[194:195], v[132:133], -v[248:249]
	v_mul_f64 v[10:11], v[188:189], s[0:1]
	v_fma_f64 v[0:1], v[186:187], s[0:1], -v[8:9]
	s_mov_b32 s6, 0xebaa3ed8
	s_mov_b32 s23, 0xbfefc445
	v_add_f64 v[192:193], v[112:113], v[116:117]
	v_add_f64 v[196:197], v[114:115], v[118:119]
	s_mov_b32 s19, 0xbfd6b1d8
	v_mul_f64 v[12:13], v[198:199], s[26:27]
	s_mov_b32 s28, 0x4bc48dbf
	v_add_f64 v[0:1], v[128:129], v[0:1]
	v_fma_f64 v[2:3], s[16:17], v[194:195], v[10:11]
	s_mov_b32 s7, 0x3fbedb7d
	v_mul_f64 v[14:15], v[190:191], s[22:23]
	v_add_f64 v[208:209], v[112:113], -v[116:117]
	v_mul_f64 v[16:17], v[196:197], s[18:19]
	v_fma_f64 v[68:69], v[192:193], s[18:19], -v[12:13]
	s_mov_b32 s24, 0x93053d00
	s_mov_b32 s29, 0xbfcea1e5
	v_add_f64 v[2:3], v[130:131], v[2:3]
	v_mul_f64 v[18:19], v[188:189], s[6:7]
	v_fma_f64 v[4:5], v[186:187], s[6:7], -v[14:15]
	v_add_f64 v[0:1], v[68:69], v[0:1]
	v_fma_f64 v[68:69], s[26:27], v[208:209], v[16:17]
	s_mov_b32 s25, 0xbfef11f4
	v_mul_f64 v[242:243], v[198:199], s[28:29]
	v_add_f64 v[4:5], v[128:129], v[4:5]
	v_fma_f64 v[6:7], s[22:23], v[194:195], v[18:19]
	v_add_f64 v[2:3], v[68:69], v[2:3]
	v_mul_f64 v[20:21], v[196:197], s[24:25]
	v_fma_f64 v[68:69], v[192:193], s[24:25], -v[242:243]
	v_add_f64 v[212:213], v[138:139], -v[158:159]
	v_add_f64 v[6:7], v[130:131], v[6:7]
	v_add_f64 v[4:5], v[68:69], v[4:5]
	v_fma_f64 v[68:69], s[28:29], v[208:209], v[20:21]
	v_add_f64 v[200:201], v[136:137], v[156:157]
	v_add_f64 v[204:205], v[138:139], v[158:159]
	v_mul_f64 v[168:169], v[212:213], s[28:29]
	v_add_f64 v[6:7], v[68:69], v[6:7]
	v_add_f64 v[224:225], v[136:137], -v[156:157]
	v_mul_f64 v[238:239], v[204:205], s[24:25]
	v_fma_f64 v[68:69], v[200:201], s[24:25], -v[168:169]
	s_mov_b32 s44, s26
	v_add_f64 v[0:1], v[68:69], v[0:1]
	v_fma_f64 v[68:69], s[28:29], v[224:225], v[238:239]
	v_mul_f64 v[22:23], v[212:213], s[44:45]
	s_mov_b32 s40, 0x24c2f84
	v_add_f64 v[2:3], v[68:69], v[2:3]
	v_mul_f64 v[182:183], v[204:205], s[18:19]
	v_fma_f64 v[68:69], v[200:201], s[18:19], -v[22:23]
	v_add_f64 v[222:223], v[142:143], -v[154:155]
	s_mov_b32 s30, 0xd0032e0c
	s_mov_b32 s41, 0x3fe5384d
	v_add_f64 v[4:5], v[68:69], v[4:5]
	v_fma_f64 v[68:69], s[44:45], v[224:225], v[182:183]
	v_add_f64 v[206:207], v[140:141], v[152:153]
	v_add_f64 v[214:215], v[142:143], v[154:155]
	s_mov_b32 s31, 0xbfe7f3cc
	v_mul_f64 v[246:247], v[222:223], s[40:41]
	v_add_f64 v[6:7], v[68:69], v[6:7]
	v_add_f64 v[236:237], v[140:141], -v[152:153]
	v_mul_f64 v[184:185], v[214:215], s[30:31]
	v_fma_f64 v[68:69], v[206:207], s[30:31], -v[246:247]
	v_add_f64 v[0:1], v[68:69], v[0:1]
	v_fma_f64 v[68:69], s[40:41], v[236:237], v[184:185]
	s_mov_b32 s34, 0xe00740e9
	s_mov_b32 s37, 0x3fddbe06
	;; [unrolled: 1-line block ×3, first 2 shown]
	v_add_f64 v[2:3], v[68:69], v[2:3]
	s_mov_b32 s35, 0x3fec55a7
	v_mul_f64 v[68:69], v[222:223], s[36:37]
	v_mul_f64 v[74:75], v[214:215], s[34:35]
	v_fma_f64 v[70:71], v[206:207], s[34:35], -v[68:69]
	v_add_f64 v[244:245], v[122:123], -v[126:127]
	s_mov_b32 s42, s22
	v_add_f64 v[4:5], v[70:71], v[4:5]
	v_fma_f64 v[70:71], s[36:37], v[236:237], v[74:75]
	v_add_f64 v[218:219], v[120:121], v[124:125]
	v_add_f64 v[230:231], v[122:123], v[126:127]
	v_mul_f64 v[160:161], v[244:245], s[42:43]
	v_add_f64 v[6:7], v[70:71], v[6:7]
	v_add_f64 v[254:255], v[120:121], -v[124:125]
	v_mul_f64 v[70:71], v[230:231], s[6:7]
	v_fma_f64 v[72:73], v[218:219], s[6:7], -v[160:161]
	v_add_f64 v[0:1], v[72:73], v[0:1]
	v_fma_f64 v[72:73], s[42:43], v[254:255], v[70:71]
	v_mul_f64 v[166:167], v[244:245], s[16:17]
	v_add_f64 v[2:3], v[72:73], v[2:3]
	v_mul_f64 v[202:203], v[230:231], s[0:1]
	v_fma_f64 v[72:73], v[218:219], s[0:1], -v[166:167]
	v_add_f64 v[4:5], v[72:73], v[4:5]
	v_fma_f64 v[72:73], s[16:17], v[254:255], v[202:203]
	v_add_f64 v[252:253], v[146:147], -v[150:151]
	v_add_f64 v[6:7], v[72:73], v[6:7]
	v_add_f64 v[234:235], v[144:145], v[148:149]
	;; [unrolled: 1-line block ×3, first 2 shown]
	v_mul_f64 v[72:73], v[252:253], s[36:37]
	v_add_f64 v[162:163], v[144:145], -v[148:149]
	v_mul_f64 v[164:165], v[240:241], s[34:35]
	v_fma_f64 v[104:105], v[234:235], s[34:35], -v[72:73]
	v_add_f64 v[104:105], v[104:105], v[0:1]
	v_fma_f64 v[0:1], s[36:37], v[162:163], v[164:165]
	s_mov_b32 s39, 0xbfe5384d
	s_mov_b32 s38, s40
	v_add_f64 v[106:107], v[0:1], v[2:3]
	v_mul_f64 v[0:1], v[252:253], s[38:39]
	v_mul_f64 v[2:3], v[240:241], s[30:31]
	v_fma_f64 v[108:109], v[234:235], s[30:31], -v[0:1]
	v_add_f64 v[108:109], v[108:109], v[4:5]
	v_fma_f64 v[4:5], s[38:39], v[162:163], v[2:3]
	v_add_f64 v[110:111], v[4:5], v[6:7]
	s_barrier
	s_and_saveexec_b64 s[20:21], s[4:5]
	s_cbranch_execz .LBB0_17
; %bb.16:
	v_mul_f64 v[4:5], v[186:187], s[0:1]
	v_accvgpr_write_b32 a45, v5
	v_accvgpr_write_b32 a44, v4
	v_mul_f64 v[4:5], v[194:195], s[16:17]
	v_accvgpr_write_b32 a51, v5
	v_accvgpr_write_b32 a50, v4
	;; [unrolled: 3-line block ×19, first 2 shown]
	v_mul_f64 v[4:5], v[218:219], s[0:1]
	v_mul_f64 v[216:217], v[208:209], s[36:37]
	v_accvgpr_write_b32 a70, v8
	v_fma_f64 v[8:9], s[24:25], v[188:189], v[226:227]
	v_accvgpr_write_b32 a93, v17
	v_accvgpr_write_b32 a81, v5
	s_mov_b32 s45, 0x3fea55e2
	s_mov_b32 s44, s16
	v_mul_f64 v[176:177], v[224:225], s[38:39]
	v_fma_f64 v[220:221], s[34:35], v[196:197], v[216:217]
	v_add_f64 v[8:9], v[130:131], v[8:9]
	v_accvgpr_write_b32 a85, v13
	v_accvgpr_write_b32 a92, v16
	v_mul_f64 v[16:17], v[190:191], s[28:29]
	v_accvgpr_write_b32 a97, v19
	v_accvgpr_write_b32 a80, v4
	v_mul_f64 v[4:5], v[254:255], s[16:17]
	v_accvgpr_write_b32 a60, v168
	v_mul_f64 v[172:173], v[236:237], s[44:45]
	v_fma_f64 v[178:179], s[30:31], v[204:205], v[176:177]
	v_add_f64 v[8:9], v[220:221], v[8:9]
	v_accvgpr_write_b32 a84, v12
	v_mul_f64 v[12:13], v[198:199], s[36:37]
	v_accvgpr_write_b32 a95, v15
	v_accvgpr_write_b32 a96, v18
	v_fma_f64 v[18:19], v[186:187], s[24:25], -v[16:17]
	v_accvgpr_write_b32 a91, v5
	v_accvgpr_write_b32 a61, v169
	v_mul_f64 v[168:169], v[254:255], s[26:27]
	v_fma_f64 v[174:175], s[0:1], v[214:215], v[172:173]
	v_add_f64 v[8:9], v[178:179], v[8:9]
	v_mul_f64 v[220:221], v[212:213], s[38:39]
	v_accvgpr_write_b32 a94, v14
	v_fma_f64 v[14:15], v[192:193], s[34:35], -v[12:13]
	v_add_f64 v[18:19], v[128:129], v[18:19]
	v_accvgpr_write_b32 a90, v4
	v_mul_f64 v[4:5], v[162:163], s[42:43]
	v_fma_f64 v[170:171], s[18:19], v[230:231], v[168:169]
	v_add_f64 v[8:9], v[174:175], v[8:9]
	v_accvgpr_write_b32 a89, v11
	v_mul_f64 v[174:175], v[222:223], s[44:45]
	v_accvgpr_write_b32 a2, v228
	v_accvgpr_write_b32 a1, v229
	v_fma_f64 v[228:229], v[200:201], s[30:31], -v[220:221]
	v_add_f64 v[14:15], v[14:15], v[18:19]
	v_fma_f64 v[6:7], s[6:7], v[240:241], v[4:5]
	v_add_f64 v[8:9], v[170:171], v[8:9]
	v_accvgpr_write_b32 a35, v27
	v_accvgpr_write_b32 a88, v10
	v_mul_f64 v[10:11], v[244:245], s[26:27]
	v_fma_f64 v[178:179], v[206:207], s[0:1], -v[174:175]
	v_add_f64 v[14:15], v[228:229], v[14:15]
	v_accvgpr_write_b32 a34, v26
	v_accvgpr_write_b32 a33, v25
	v_accvgpr_write_b32 a32, v24
	v_add_f64 v[26:27], v[6:7], v[8:9]
	v_mul_f64 v[6:7], v[252:253], s[42:43]
	v_fma_f64 v[170:171], v[218:219], s[18:19], -v[10:11]
	v_add_f64 v[14:15], v[178:179], v[14:15]
	v_fma_f64 v[8:9], v[234:235], s[6:7], -v[6:7]
	v_add_f64 v[14:15], v[170:171], v[14:15]
	;; [unrolled: 2-line block ×3, first 2 shown]
	v_fma_f64 v[8:9], v[230:231], s[18:19], -v[168:169]
	v_fma_f64 v[168:169], v[196:197], s[34:35], -v[216:217]
	v_add_f64 v[170:171], v[130:131], v[170:171]
	v_fma_f64 v[18:19], v[204:205], s[30:31], -v[176:177]
	v_add_f64 v[168:169], v[168:169], v[170:171]
	;; [unrolled: 2-line block ×3, first 2 shown]
	v_add_f64 v[14:15], v[14:15], v[18:19]
	v_fma_f64 v[4:5], v[240:241], s[6:7], -v[4:5]
	v_add_f64 v[8:9], v[8:9], v[14:15]
	v_fmac_f64_e32 v[16:17], s[24:25], v[186:187]
	v_add_f64 v[8:9], v[4:5], v[8:9]
	v_fmac_f64_e32 v[12:13], s[34:35], v[192:193]
	;; [unrolled: 2-line block ×4, first 2 shown]
	v_add_f64 v[4:5], v[220:221], v[4:5]
	v_add_f64 v[4:5], v[174:175], v[4:5]
	v_mul_f64 v[174:175], v[194:195], s[38:39]
	v_fmac_f64_e32 v[10:11], s[18:19], v[218:219]
	v_mul_f64 v[172:173], v[208:209], s[42:43]
	v_fma_f64 v[170:171], s[30:31], v[188:189], v[174:175]
	v_fmac_f64_e32 v[6:7], s[6:7], v[234:235]
	v_add_f64 v[4:5], v[10:11], v[4:5]
	s_mov_b32 s47, 0x3fcea1e5
	s_mov_b32 s46, s28
	v_mul_f64 v[16:17], v[224:225], s[16:17]
	v_fma_f64 v[168:169], s[6:7], v[196:197], v[172:173]
	v_add_f64 v[170:171], v[130:131], v[170:171]
	v_mul_f64 v[228:229], v[190:191], s[38:39]
	v_add_f64 v[6:7], v[6:7], v[4:5]
	v_accvgpr_write_b32 a39, v9
	v_mul_f64 v[12:13], v[236:237], s[46:47]
	v_fma_f64 v[18:19], s[0:1], v[204:205], v[16:17]
	v_add_f64 v[168:169], v[168:169], v[170:171]
	v_mul_f64 v[220:221], v[198:199], s[42:43]
	v_fma_f64 v[170:171], v[186:187], s[30:31], -v[228:229]
	v_accvgpr_write_b32 a38, v8
	v_accvgpr_write_b32 a37, v7
	;; [unrolled: 1-line block ×3, first 2 shown]
	v_mul_f64 v[8:9], v[254:255], s[36:37]
	v_fma_f64 v[14:15], s[24:25], v[214:215], v[12:13]
	v_add_f64 v[18:19], v[18:19], v[168:169]
	v_mul_f64 v[178:179], v[212:213], s[16:17]
	v_fma_f64 v[226:227], v[192:193], s[6:7], -v[220:221]
	v_add_f64 v[170:171], v[128:129], v[170:171]
	v_mul_f64 v[4:5], v[162:163], s[26:27]
	v_fma_f64 v[10:11], s[34:35], v[230:231], v[8:9]
	v_add_f64 v[14:15], v[14:15], v[18:19]
	v_mul_f64 v[176:177], v[222:223], s[46:47]
	v_fma_f64 v[216:217], v[200:201], s[0:1], -v[178:179]
	v_add_f64 v[170:171], v[226:227], v[170:171]
	v_fma_f64 v[6:7], s[18:19], v[240:241], v[4:5]
	v_add_f64 v[10:11], v[10:11], v[14:15]
	v_accvgpr_write_b32 a43, v31
	v_mul_f64 v[14:15], v[244:245], s[36:37]
	v_fma_f64 v[168:169], v[206:207], s[24:25], -v[176:177]
	v_add_f64 v[170:171], v[216:217], v[170:171]
	v_accvgpr_write_b32 a42, v30
	v_accvgpr_write_b32 a41, v29
	;; [unrolled: 1-line block ×3, first 2 shown]
	v_add_f64 v[30:31], v[6:7], v[10:11]
	v_mul_f64 v[6:7], v[252:253], s[26:27]
	v_fma_f64 v[18:19], v[218:219], s[34:35], -v[14:15]
	v_add_f64 v[168:169], v[168:169], v[170:171]
	v_fma_f64 v[10:11], v[234:235], s[18:19], -v[6:7]
	v_add_f64 v[18:19], v[18:19], v[168:169]
	v_add_f64 v[28:29], v[10:11], v[18:19]
	v_fma_f64 v[18:19], v[188:189], s[30:31], -v[174:175]
	v_fma_f64 v[10:11], v[214:215], s[24:25], -v[12:13]
	;; [unrolled: 1-line block ×4, first 2 shown]
	v_add_f64 v[18:19], v[130:131], v[18:19]
	v_add_f64 v[16:17], v[16:17], v[18:19]
	;; [unrolled: 1-line block ×3, first 2 shown]
	v_fma_f64 v[8:9], v[230:231], s[34:35], -v[8:9]
	v_add_f64 v[10:11], v[10:11], v[12:13]
	v_fma_f64 v[4:5], v[240:241], s[18:19], -v[4:5]
	v_add_f64 v[8:9], v[8:9], v[10:11]
	v_fmac_f64_e32 v[228:229], s[30:31], v[186:187]
	v_add_f64 v[174:175], v[4:5], v[8:9]
	v_fmac_f64_e32 v[220:221], s[6:7], v[192:193]
	;; [unrolled: 2-line block ×4, first 2 shown]
	v_add_f64 v[4:5], v[178:179], v[4:5]
	v_mul_f64 v[216:217], v[194:195], s[26:27]
	v_add_f64 v[4:5], v[176:177], v[4:5]
	v_mul_f64 v[168:169], v[208:209], s[40:41]
	v_fma_f64 v[176:177], s[18:19], v[188:189], v[216:217]
	v_mul_f64 v[16:17], v[224:225], s[36:37]
	v_fma_f64 v[170:171], s[30:31], v[196:197], v[168:169]
	v_add_f64 v[176:177], v[130:131], v[176:177]
	v_fmac_f64_e32 v[14:15], s[34:35], v[218:219]
	v_mul_f64 v[12:13], v[236:237], s[22:23]
	v_fma_f64 v[18:19], s[34:35], v[204:205], v[16:17]
	v_add_f64 v[170:171], v[170:171], v[176:177]
	v_fmac_f64_e32 v[6:7], s[18:19], v[234:235]
	v_add_f64 v[4:5], v[14:15], v[4:5]
	v_mul_f64 v[8:9], v[254:255], s[46:47]
	v_fma_f64 v[14:15], s[6:7], v[214:215], v[12:13]
	v_add_f64 v[18:19], v[18:19], v[170:171]
	v_add_f64 v[172:173], v[6:7], v[4:5]
	v_mul_f64 v[4:5], v[162:163], s[44:45]
	v_fma_f64 v[10:11], s[24:25], v[230:231], v[8:9]
	v_add_f64 v[14:15], v[14:15], v[18:19]
	v_mul_f64 v[226:227], v[190:191], s[26:27]
	v_fma_f64 v[6:7], s[0:1], v[240:241], v[4:5]
	v_add_f64 v[10:11], v[10:11], v[14:15]
	v_mul_f64 v[220:221], v[198:199], s[40:41]
	v_fma_f64 v[176:177], v[186:187], s[18:19], -v[226:227]
	v_add_f64 v[178:179], v[6:7], v[10:11]
	v_mul_f64 v[170:171], v[212:213], s[36:37]
	v_fma_f64 v[6:7], v[192:193], s[30:31], -v[220:221]
	v_add_f64 v[176:177], v[128:129], v[176:177]
	v_mul_f64 v[18:19], v[222:223], s[22:23]
	v_add_f64 v[6:7], v[6:7], v[176:177]
	v_fma_f64 v[176:177], v[200:201], s[34:35], -v[170:171]
	v_mul_f64 v[14:15], v[244:245], s[46:47]
	v_add_f64 v[6:7], v[176:177], v[6:7]
	v_fma_f64 v[176:177], v[206:207], s[6:7], -v[18:19]
	;; [unrolled: 3-line block ×3, first 2 shown]
	v_add_f64 v[6:7], v[176:177], v[6:7]
	v_fma_f64 v[176:177], v[234:235], s[0:1], -v[10:11]
	v_add_f64 v[176:177], v[176:177], v[6:7]
	v_fma_f64 v[6:7], v[196:197], s[30:31], -v[168:169]
	v_fma_f64 v[168:169], v[188:189], s[18:19], -v[216:217]
	v_add_f64 v[168:169], v[130:131], v[168:169]
	v_add_f64 v[6:7], v[6:7], v[168:169]
	v_fma_f64 v[16:17], v[204:205], s[34:35], -v[16:17]
	v_add_f64 v[6:7], v[16:17], v[6:7]
	v_fma_f64 v[12:13], v[214:215], s[6:7], -v[12:13]
	v_fma_f64 v[8:9], v[230:231], s[24:25], -v[8:9]
	v_add_f64 v[6:7], v[12:13], v[6:7]
	v_fma_f64 v[4:5], v[240:241], s[0:1], -v[4:5]
	v_add_f64 v[6:7], v[8:9], v[6:7]
	v_fmac_f64_e32 v[226:227], s[18:19], v[186:187]
	v_add_f64 v[6:7], v[4:5], v[6:7]
	v_fmac_f64_e32 v[220:221], s[30:31], v[192:193]
	;; [unrolled: 2-line block ×3, first 2 shown]
	v_add_f64 v[4:5], v[220:221], v[4:5]
	v_mul_f64 v[16:17], v[162:163], s[38:39]
	v_fmac_f64_e32 v[18:19], s[6:7], v[206:207]
	v_add_f64 v[4:5], v[170:171], v[4:5]
	v_fmac_f64_e32 v[14:15], s[24:25], v[218:219]
	v_add_f64 v[4:5], v[18:19], v[4:5]
	v_add_f64 v[2:3], v[2:3], -v[16:17]
	v_accvgpr_read_b32 v16, a74
	v_accvgpr_read_b32 v18, a96
	v_add_f64 v[4:5], v[14:15], v[4:5]
	v_accvgpr_read_b32 v14, a78
	v_accvgpr_read_b32 v17, a75
	;; [unrolled: 1-line block ×5, first 2 shown]
	v_add_f64 v[16:17], v[18:19], -v[16:17]
	v_accvgpr_read_b32 v13, a83
	v_add_f64 v[14:15], v[20:21], -v[14:15]
	v_add_f64 v[16:17], v[130:131], v[16:17]
	v_add_f64 v[12:13], v[182:183], -v[12:13]
	v_add_f64 v[14:15], v[14:15], v[16:17]
	v_accvgpr_read_b32 v16, a62
	v_accvgpr_read_b32 v18, a94
	v_fmac_f64_e32 v[10:11], s[0:1], v[234:235]
	v_add_f64 v[12:13], v[12:13], v[14:15]
	v_accvgpr_read_b32 v14, a66
	v_accvgpr_read_b32 v17, a63
	;; [unrolled: 1-line block ×3, first 2 shown]
	v_add_f64 v[4:5], v[10:11], v[4:5]
	v_accvgpr_read_b32 v10, a86
	v_accvgpr_read_b32 v15, a67
	v_add_f64 v[16:17], v[16:17], v[18:19]
	v_accvgpr_read_b32 v8, a90
	v_accvgpr_read_b32 v11, a87
	v_add_f64 v[14:15], v[14:15], v[242:243]
	v_add_f64 v[16:17], v[128:129], v[16:17]
	v_accvgpr_read_b32 v9, a91
	v_add_f64 v[10:11], v[74:75], -v[10:11]
	v_add_f64 v[14:15], v[14:15], v[16:17]
	v_accvgpr_read_b32 v16, a54
	v_accvgpr_read_b32 v18, a92
	v_add_f64 v[8:9], v[202:203], -v[8:9]
	v_add_f64 v[10:11], v[10:11], v[12:13]
	v_accvgpr_read_b32 v12, a72
	v_accvgpr_read_b32 v17, a55
	;; [unrolled: 1-line block ×3, first 2 shown]
	v_add_f64 v[8:9], v[8:9], v[10:11]
	v_accvgpr_read_b32 v10, a76
	v_accvgpr_read_b32 v13, a73
	v_add_f64 v[16:17], v[18:19], -v[16:17]
	v_accvgpr_read_b32 v18, a50
	v_accvgpr_read_b32 v20, a88
	;; [unrolled: 1-line block ×3, first 2 shown]
	v_add_f64 v[12:13], v[12:13], v[22:23]
	v_accvgpr_read_b32 v19, a51
	v_accvgpr_read_b32 v21, a89
	v_add_f64 v[10:11], v[10:11], v[68:69]
	v_add_f64 v[12:13], v[12:13], v[14:15]
	v_accvgpr_read_b32 v14, a58
	v_add_f64 v[18:19], v[20:21], -v[18:19]
	v_add_f64 v[10:11], v[10:11], v[12:13]
	v_accvgpr_read_b32 v12, a64
	v_accvgpr_read_b32 v15, a59
	v_add_f64 v[18:19], v[130:131], v[18:19]
	v_accvgpr_read_b32 v13, a65
	v_add_f64 v[14:15], v[238:239], -v[14:15]
	v_add_f64 v[16:17], v[16:17], v[18:19]
	v_add_f64 v[12:13], v[184:185], -v[12:13]
	v_add_f64 v[14:15], v[14:15], v[16:17]
	v_add_f64 v[12:13], v[12:13], v[14:15]
	v_accvgpr_read_b32 v14, a48
	v_accvgpr_read_b32 v16, a60
	v_add_f64 v[2:3], v[2:3], v[8:9]
	v_accvgpr_read_b32 v8, a80
	v_accvgpr_read_b32 v15, a49
	;; [unrolled: 1-line block ×4, first 2 shown]
	v_add_f64 v[14:15], v[14:15], v[16:17]
	v_accvgpr_read_b32 v16, a46
	v_accvgpr_read_b32 v18, a84
	v_add_f64 v[8:9], v[8:9], v[166:167]
	v_accvgpr_read_b32 v17, a47
	v_accvgpr_read_b32 v19, a85
	v_add_f64 v[8:9], v[8:9], v[10:11]
	v_accvgpr_read_b32 v10, a68
	v_add_f64 v[16:17], v[16:17], v[18:19]
	v_accvgpr_read_b32 v18, a44
	v_accvgpr_read_b32 v20, a70
	v_mul_f64 v[168:169], v[234:235], s[30:31]
	v_accvgpr_read_b32 v11, a69
	v_accvgpr_read_b32 v19, a45
	;; [unrolled: 1-line block ×3, first 2 shown]
	v_accvgpr_write_b32 a3, v232
	v_mul_f64 v[232:233], v[162:163], s[36:37]
	v_add_f64 v[0:1], v[168:169], v[0:1]
	v_add_f64 v[10:11], v[70:71], -v[10:11]
	v_add_f64 v[18:19], v[18:19], v[20:21]
	v_add_f64 v[0:1], v[0:1], v[8:9]
	v_add_f64 v[8:9], v[164:165], -v[232:233]
	v_add_f64 v[10:11], v[10:11], v[12:13]
	v_accvgpr_read_b32 v12, a52
	v_add_f64 v[18:19], v[128:129], v[18:19]
	v_add_f64 v[70:71], v[8:9], v[10:11]
	v_accvgpr_read_b32 v10, a56
	v_accvgpr_read_b32 v13, a53
	v_add_f64 v[16:17], v[16:17], v[18:19]
	v_accvgpr_read_b32 v11, a57
	v_add_f64 v[12:13], v[12:13], v[246:247]
	v_add_f64 v[14:15], v[14:15], v[16:17]
	v_mul_f64 v[228:229], v[234:235], s[34:35]
	v_add_f64 v[10:11], v[10:11], v[160:161]
	v_add_f64 v[12:13], v[12:13], v[14:15]
	s_mov_b32 s37, 0xbfddbe06
	v_add_f64 v[8:9], v[228:229], v[72:73]
	v_add_f64 v[10:11], v[10:11], v[12:13]
	v_mul_f64 v[164:165], v[194:195], s[36:37]
	v_add_f64 v[68:69], v[8:9], v[10:11]
	v_mul_f64 v[8:9], v[162:163], s[28:29]
	v_mul_f64 v[162:163], v[208:209], s[16:17]
	v_fma_f64 v[166:167], s[34:35], v[188:189], v[164:165]
	v_mul_f64 v[160:161], v[224:225], s[22:23]
	v_fma_f64 v[74:75], s[0:1], v[196:197], v[162:163]
	v_add_f64 v[166:167], v[130:131], v[166:167]
	v_mul_f64 v[190:191], v[190:191], s[36:37]
	v_mul_f64 v[16:17], v[236:237], s[26:27]
	v_fma_f64 v[72:73], s[6:7], v[204:205], v[160:161]
	v_add_f64 v[74:75], v[74:75], v[166:167]
	v_mul_f64 v[184:185], v[198:199], s[16:17]
	v_fma_f64 v[198:199], v[186:187], s[34:35], -v[190:191]
	v_mul_f64 v[12:13], v[254:255], s[38:39]
	v_fma_f64 v[18:19], s[18:19], v[214:215], v[16:17]
	v_add_f64 v[72:73], v[72:73], v[74:75]
	v_mul_f64 v[170:171], v[212:213], s[22:23]
	v_fma_f64 v[194:195], v[192:193], s[0:1], -v[184:185]
	v_add_f64 v[198:199], v[128:129], v[198:199]
	v_fma_f64 v[14:15], s[30:31], v[230:231], v[12:13]
	v_add_f64 v[18:19], v[18:19], v[72:73]
	v_mul_f64 v[166:167], v[222:223], s[26:27]
	v_fma_f64 v[182:183], v[200:201], s[6:7], -v[170:171]
	v_add_f64 v[194:195], v[194:195], v[198:199]
	;; [unrolled: 5-line block ×3, first 2 shown]
	v_add_f64 v[74:75], v[10:11], v[14:15]
	v_mul_f64 v[10:11], v[252:253], s[28:29]
	v_fma_f64 v[72:73], v[218:219], s[30:31], -v[18:19]
	v_add_f64 v[168:169], v[168:169], v[182:183]
	v_fma_f64 v[14:15], v[234:235], s[24:25], -v[10:11]
	v_add_f64 v[72:73], v[72:73], v[168:169]
	v_add_f64 v[72:73], v[14:15], v[72:73]
	v_fma_f64 v[14:15], v[214:215], s[18:19], -v[16:17]
	v_fma_f64 v[16:17], v[204:205], s[6:7], -v[160:161]
	;; [unrolled: 1-line block ×4, first 2 shown]
	v_add_f64 v[162:163], v[130:131], v[162:163]
	v_add_f64 v[160:161], v[160:161], v[162:163]
	;; [unrolled: 1-line block ×3, first 2 shown]
	v_fma_f64 v[12:13], v[230:231], s[30:31], -v[12:13]
	v_add_f64 v[14:15], v[14:15], v[16:17]
	v_fma_f64 v[8:9], v[240:241], s[24:25], -v[8:9]
	v_add_f64 v[12:13], v[12:13], v[14:15]
	v_fmac_f64_e32 v[190:191], s[34:35], v[186:187]
	v_add_f64 v[162:163], v[8:9], v[12:13]
	v_fmac_f64_e32 v[184:185], s[0:1], v[192:193]
	;; [unrolled: 2-line block ×6, first 2 shown]
	v_add_f64 v[8:9], v[18:19], v[8:9]
	v_add_f64 v[160:161], v[10:11], v[8:9]
	;; [unrolled: 1-line block ×26, first 2 shown]
	v_lshlrev_b32_e32 v8, 4, v181
	ds_write_b128 v8, v[112:115]
	ds_write_b128 v8, v[160:163] offset:16
	ds_write_b128 v8, v[68:71] offset:32
	;; [unrolled: 1-line block ×7, first 2 shown]
	v_accvgpr_read_b32 v24, a32
	ds_write_b128 v8, v[28:31] offset:128
	v_accvgpr_read_b32 v28, a40
	v_accvgpr_read_b32 v226, a0
	;; [unrolled: 1-line block ×11, first 2 shown]
	ds_write_b128 v8, v[176:179] offset:144
	ds_write_b128 v8, v[108:111] offset:160
	;; [unrolled: 1-line block ×4, first 2 shown]
.LBB0_17:
	s_or_b64 exec, exec, s[20:21]
	v_accvgpr_read_b32 v8, a16
	v_accvgpr_read_b32 v10, a18
	;; [unrolled: 1-line block ×3, first 2 shown]
	s_waitcnt lgkmcnt(0)
	s_barrier
	ds_read_b128 v[0:3], v210
	ds_read_b128 v[112:115], v210 offset:3120
	ds_read_b128 v[4:7], v210 offset:6240
	;; [unrolled: 1-line block ×9, first 2 shown]
	v_accvgpr_read_b32 v9, a17
	s_waitcnt lgkmcnt(7)
	v_mul_f64 v[14:15], v[10:11], v[6:7]
	v_fmac_f64_e32 v[14:15], v[8:9], v[4:5]
	v_mul_f64 v[4:5], v[10:11], v[4:5]
	v_fma_f64 v[136:137], v[8:9], v[6:7], -v[4:5]
	v_accvgpr_read_b32 v6, a12
	v_accvgpr_read_b32 v8, a14
	v_accvgpr_read_b32 v9, a15
	v_accvgpr_read_b32 v7, a13
	s_waitcnt lgkmcnt(5)
	v_mul_f64 v[18:19], v[8:9], v[74:75]
	v_mul_f64 v[4:5], v[8:9], v[72:73]
	v_fmac_f64_e32 v[18:19], v[6:7], v[72:73]
	v_fma_f64 v[72:73], v[6:7], v[74:75], -v[4:5]
	v_accvgpr_read_b32 v6, a8
	v_accvgpr_read_b32 v8, a10
	v_accvgpr_read_b32 v9, a11
	v_accvgpr_read_b32 v7, a9
	s_waitcnt lgkmcnt(3)
	v_mul_f64 v[74:75], v[8:9], v[122:123]
	v_mul_f64 v[4:5], v[8:9], v[120:121]
	v_fmac_f64_e32 v[74:75], v[6:7], v[120:121]
	;; [unrolled: 9-line block ×3, first 2 shown]
	v_fma_f64 v[128:129], v[6:7], v[130:131], -v[4:5]
	v_mul_f64 v[130:131], v[34:35], v[70:71]
	v_mul_f64 v[4:5], v[34:35], v[68:69]
	v_fmac_f64_e32 v[130:131], v[32:33], v[68:69]
	v_fma_f64 v[68:69], v[32:33], v[70:71], -v[4:5]
	v_mul_f64 v[4:5], v[30:31], v[116:117]
	v_accvgpr_read_b32 v6, a20
	v_mul_f64 v[34:35], v[30:31], v[118:119]
	v_fma_f64 v[70:71], v[28:29], v[118:119], -v[4:5]
	v_mul_f64 v[4:5], v[26:27], v[124:125]
	v_accvgpr_read_b32 v8, a22
	v_accvgpr_read_b32 v9, a23
	v_fmac_f64_e32 v[34:35], v[28:29], v[116:117]
	v_mul_f64 v[116:117], v[26:27], v[126:127]
	v_fma_f64 v[118:119], v[24:25], v[126:127], -v[4:5]
	v_accvgpr_read_b32 v7, a21
	s_waitcnt lgkmcnt(0)
	v_mul_f64 v[30:31], v[8:9], v[134:135]
	v_mul_f64 v[4:5], v[8:9], v[132:133]
	v_fmac_f64_e32 v[116:117], v[24:25], v[124:125]
	v_fmac_f64_e32 v[30:31], v[6:7], v[132:133]
	v_fma_f64 v[124:125], v[6:7], v[134:135], -v[4:5]
	v_add_f64 v[6:7], v[18:19], v[74:75]
	s_mov_b32 s20, 0x134454ff
	v_fma_f64 v[8:9], -0.5, v[6:7], v[0:1]
	v_add_f64 v[6:7], v[136:137], -v[128:129]
	s_mov_b32 s21, 0xbfee6f0e
	s_mov_b32 s18, 0x4755a5e
	;; [unrolled: 1-line block ×4, first 2 shown]
	v_fma_f64 v[12:13], s[20:21], v[6:7], v[8:9]
	v_add_f64 v[10:11], v[72:73], -v[120:121]
	s_mov_b32 s19, 0xbfe2cf23
	v_add_f64 v[16:17], v[14:15], -v[18:19]
	v_add_f64 v[20:21], v[122:123], -v[74:75]
	s_mov_b32 s0, 0x372fe950
	v_fmac_f64_e32 v[8:9], s[16:17], v[6:7]
	s_mov_b32 s7, 0x3fe2cf23
	s_mov_b32 s6, s18
	v_fmac_f64_e32 v[12:13], s[18:19], v[10:11]
	v_add_f64 v[16:17], v[16:17], v[20:21]
	s_mov_b32 s1, 0x3fd3c6ef
	v_fmac_f64_e32 v[8:9], s[6:7], v[10:11]
	v_fmac_f64_e32 v[12:13], s[0:1], v[16:17]
	;; [unrolled: 1-line block ×3, first 2 shown]
	v_add_f64 v[16:17], v[14:15], v[122:123]
	v_add_f64 v[4:5], v[0:1], v[14:15]
	v_fmac_f64_e32 v[0:1], -0.5, v[16:17]
	v_fma_f64 v[16:17], s[16:17], v[10:11], v[0:1]
	v_add_f64 v[20:21], v[18:19], -v[14:15]
	v_add_f64 v[22:23], v[74:75], -v[122:123]
	v_fmac_f64_e32 v[0:1], s[20:21], v[10:11]
	v_fmac_f64_e32 v[16:17], s[18:19], v[6:7]
	v_add_f64 v[20:21], v[20:21], v[22:23]
	v_fmac_f64_e32 v[0:1], s[6:7], v[6:7]
	v_add_f64 v[10:11], v[72:73], v[120:121]
	v_fmac_f64_e32 v[16:17], s[0:1], v[20:21]
	v_fmac_f64_e32 v[0:1], s[0:1], v[20:21]
	v_fma_f64 v[10:11], -0.5, v[10:11], v[2:3]
	v_add_f64 v[20:21], v[14:15], -v[122:123]
	v_add_f64 v[4:5], v[4:5], v[18:19]
	v_fma_f64 v[14:15], s[16:17], v[20:21], v[10:11]
	v_add_f64 v[22:23], v[18:19], -v[74:75]
	v_add_f64 v[18:19], v[136:137], -v[72:73]
	;; [unrolled: 1-line block ×3, first 2 shown]
	v_fmac_f64_e32 v[10:11], s[20:21], v[20:21]
	v_fmac_f64_e32 v[14:15], s[6:7], v[22:23]
	v_add_f64 v[18:19], v[18:19], v[24:25]
	v_fmac_f64_e32 v[10:11], s[18:19], v[22:23]
	v_fmac_f64_e32 v[14:15], s[0:1], v[18:19]
	;; [unrolled: 1-line block ×3, first 2 shown]
	v_add_f64 v[18:19], v[136:137], v[128:129]
	v_add_f64 v[6:7], v[2:3], v[136:137]
	v_fmac_f64_e32 v[2:3], -0.5, v[18:19]
	v_fma_f64 v[18:19], s[20:21], v[22:23], v[2:3]
	v_add_f64 v[24:25], v[72:73], -v[136:137]
	v_add_f64 v[26:27], v[120:121], -v[128:129]
	v_fmac_f64_e32 v[2:3], s[16:17], v[22:23]
	v_fmac_f64_e32 v[18:19], s[6:7], v[20:21]
	v_add_f64 v[24:25], v[24:25], v[26:27]
	v_fmac_f64_e32 v[2:3], s[18:19], v[20:21]
	v_add_f64 v[22:23], v[34:35], v[116:117]
	v_fmac_f64_e32 v[18:19], s[0:1], v[24:25]
	v_fmac_f64_e32 v[2:3], s[0:1], v[24:25]
	v_fma_f64 v[24:25], -0.5, v[22:23], v[112:113]
	v_add_f64 v[22:23], v[68:69], -v[124:125]
	v_add_f64 v[6:7], v[6:7], v[72:73]
	v_fma_f64 v[28:29], s[20:21], v[22:23], v[24:25]
	v_add_f64 v[26:27], v[70:71], -v[118:119]
	v_add_f64 v[32:33], v[130:131], -v[34:35]
	;; [unrolled: 1-line block ×3, first 2 shown]
	v_fmac_f64_e32 v[24:25], s[16:17], v[22:23]
	v_fmac_f64_e32 v[28:29], s[18:19], v[26:27]
	v_add_f64 v[32:33], v[32:33], v[72:73]
	v_fmac_f64_e32 v[24:25], s[6:7], v[26:27]
	v_fmac_f64_e32 v[28:29], s[0:1], v[32:33]
	v_fmac_f64_e32 v[24:25], s[0:1], v[32:33]
	v_add_f64 v[32:33], v[130:131], v[30:31]
	v_add_f64 v[20:21], v[112:113], v[130:131]
	v_fmac_f64_e32 v[112:113], -0.5, v[32:33]
	v_add_f64 v[4:5], v[4:5], v[74:75]
	v_fma_f64 v[32:33], s[16:17], v[26:27], v[112:113]
	v_add_f64 v[72:73], v[34:35], -v[130:131]
	v_add_f64 v[74:75], v[116:117], -v[30:31]
	v_fmac_f64_e32 v[112:113], s[20:21], v[26:27]
	v_add_f64 v[20:21], v[20:21], v[34:35]
	v_fmac_f64_e32 v[32:33], s[18:19], v[22:23]
	v_add_f64 v[72:73], v[72:73], v[74:75]
	;; [unrolled: 2-line block ×3, first 2 shown]
	v_add_f64 v[20:21], v[20:21], v[116:117]
	v_fmac_f64_e32 v[32:33], s[0:1], v[72:73]
	v_fmac_f64_e32 v[112:113], s[0:1], v[72:73]
	v_fma_f64 v[26:27], -0.5, v[26:27], v[114:115]
	v_add_f64 v[72:73], v[130:131], -v[30:31]
	v_add_f64 v[20:21], v[20:21], v[30:31]
	v_fma_f64 v[30:31], s[16:17], v[72:73], v[26:27]
	v_add_f64 v[74:75], v[34:35], -v[116:117]
	v_add_f64 v[34:35], v[68:69], -v[70:71]
	;; [unrolled: 1-line block ×3, first 2 shown]
	v_fmac_f64_e32 v[26:27], s[20:21], v[72:73]
	v_fmac_f64_e32 v[30:31], s[6:7], v[74:75]
	v_add_f64 v[34:35], v[34:35], v[116:117]
	v_fmac_f64_e32 v[26:27], s[18:19], v[74:75]
	v_fmac_f64_e32 v[30:31], s[0:1], v[34:35]
	;; [unrolled: 1-line block ×3, first 2 shown]
	v_add_f64 v[34:35], v[68:69], v[124:125]
	v_add_f64 v[22:23], v[114:115], v[68:69]
	v_fmac_f64_e32 v[114:115], -0.5, v[34:35]
	v_add_f64 v[22:23], v[22:23], v[70:71]
	v_fma_f64 v[34:35], s[20:21], v[74:75], v[114:115]
	v_add_f64 v[68:69], v[70:71], -v[68:69]
	v_add_f64 v[70:71], v[118:119], -v[124:125]
	v_add_f64 v[6:7], v[6:7], v[120:121]
	v_add_f64 v[22:23], v[22:23], v[118:119]
	v_fmac_f64_e32 v[34:35], s[6:7], v[72:73]
	v_add_f64 v[68:69], v[68:69], v[70:71]
	v_fmac_f64_e32 v[114:115], s[16:17], v[74:75]
	v_add_f64 v[4:5], v[4:5], v[122:123]
	v_add_f64 v[6:7], v[6:7], v[128:129]
	v_add_f64 v[22:23], v[22:23], v[124:125]
	v_fmac_f64_e32 v[34:35], s[0:1], v[68:69]
	v_fmac_f64_e32 v[114:115], s[18:19], v[72:73]
	;; [unrolled: 1-line block ×3, first 2 shown]
	s_barrier
	ds_write_b128 v229, v[4:7]
	ds_write_b128 v229, v[12:15] offset:208
	ds_write_b128 v229, v[16:19] offset:416
	;; [unrolled: 1-line block ×4, first 2 shown]
	ds_write_b128 v232, v[20:23]
	ds_write_b128 v232, v[28:31] offset:208
	ds_write_b128 v232, v[32:35] offset:416
	ds_write_b128 v232, v[112:115] offset:624
	ds_write_b128 v232, v[24:27] offset:832
	s_waitcnt lgkmcnt(0)
	s_barrier
	ds_read_b128 v[0:3], v210
	ds_read_b128 v[4:7], v210 offset:3120
	ds_read_b128 v[8:11], v210 offset:6240
	;; [unrolled: 1-line block ×9, first 2 shown]
	s_waitcnt lgkmcnt(8)
	v_mul_f64 v[72:73], v[50:51], v[6:7]
	v_fmac_f64_e32 v[72:73], v[48:49], v[4:5]
	v_mul_f64 v[4:5], v[50:51], v[4:5]
	v_fma_f64 v[48:49], v[48:49], v[6:7], -v[4:5]
	s_waitcnt lgkmcnt(7)
	v_mul_f64 v[6:7], v[46:47], v[8:9]
	v_mul_f64 v[4:5], v[46:47], v[10:11]
	v_fma_f64 v[6:7], v[44:45], v[10:11], -v[6:7]
	s_waitcnt lgkmcnt(6)
	v_mul_f64 v[10:11], v[42:43], v[12:13]
	v_fmac_f64_e32 v[4:5], v[44:45], v[8:9]
	v_mul_f64 v[8:9], v[42:43], v[14:15]
	v_fma_f64 v[10:11], v[40:41], v[14:15], -v[10:11]
	s_waitcnt lgkmcnt(5)
	v_mul_f64 v[14:15], v[38:39], v[16:17]
	v_fmac_f64_e32 v[8:9], v[40:41], v[12:13]
	;; [unrolled: 5-line block ×6, first 2 shown]
	v_mul_f64 v[28:29], v[54:55], v[34:35]
	v_fma_f64 v[30:31], v[52:53], v[34:35], -v[30:31]
	v_add_f64 v[38:39], v[12:13], v[20:21]
	v_fmac_f64_e32 v[28:29], v[52:53], v[32:33]
	v_fma_f64 v[38:39], -0.5, v[38:39], v[0:1]
	v_add_f64 v[40:41], v[6:7], -v[30:31]
	v_fma_f64 v[42:43], s[20:21], v[40:41], v[38:39]
	v_add_f64 v[44:45], v[14:15], -v[22:23]
	v_add_f64 v[46:47], v[4:5], -v[12:13]
	;; [unrolled: 1-line block ×3, first 2 shown]
	v_fmac_f64_e32 v[38:39], s[16:17], v[40:41]
	v_fmac_f64_e32 v[42:43], s[18:19], v[44:45]
	v_add_f64 v[46:47], v[46:47], v[50:51]
	v_fmac_f64_e32 v[38:39], s[6:7], v[44:45]
	v_fmac_f64_e32 v[42:43], s[0:1], v[46:47]
	;; [unrolled: 1-line block ×3, first 2 shown]
	v_add_f64 v[46:47], v[4:5], v[28:29]
	v_add_f64 v[36:37], v[0:1], v[4:5]
	v_fmac_f64_e32 v[0:1], -0.5, v[46:47]
	v_add_f64 v[36:37], v[36:37], v[12:13]
	v_fma_f64 v[46:47], s[16:17], v[44:45], v[0:1]
	v_add_f64 v[50:51], v[12:13], -v[4:5]
	v_add_f64 v[52:53], v[20:21], -v[28:29]
	v_fmac_f64_e32 v[0:1], s[20:21], v[44:45]
	v_add_f64 v[44:45], v[14:15], v[22:23]
	v_add_f64 v[36:37], v[36:37], v[20:21]
	v_fmac_f64_e32 v[46:47], s[18:19], v[40:41]
	v_add_f64 v[50:51], v[50:51], v[52:53]
	v_fmac_f64_e32 v[0:1], s[6:7], v[40:41]
	v_fma_f64 v[44:45], -0.5, v[44:45], v[2:3]
	v_add_f64 v[4:5], v[4:5], -v[28:29]
	v_add_f64 v[36:37], v[36:37], v[28:29]
	v_fmac_f64_e32 v[46:47], s[0:1], v[50:51]
	v_fmac_f64_e32 v[0:1], s[0:1], v[50:51]
	v_fma_f64 v[50:51], s[16:17], v[4:5], v[44:45]
	v_add_f64 v[12:13], v[12:13], -v[20:21]
	v_add_f64 v[20:21], v[6:7], -v[14:15]
	;; [unrolled: 1-line block ×3, first 2 shown]
	v_fmac_f64_e32 v[44:45], s[20:21], v[4:5]
	v_fmac_f64_e32 v[50:51], s[6:7], v[12:13]
	v_add_f64 v[20:21], v[20:21], v[28:29]
	v_fmac_f64_e32 v[44:45], s[18:19], v[12:13]
	v_fmac_f64_e32 v[50:51], s[0:1], v[20:21]
	;; [unrolled: 1-line block ×3, first 2 shown]
	v_add_f64 v[20:21], v[6:7], v[30:31]
	v_add_f64 v[40:41], v[2:3], v[6:7]
	v_fmac_f64_e32 v[2:3], -0.5, v[20:21]
	v_fma_f64 v[52:53], s[20:21], v[12:13], v[2:3]
	v_fmac_f64_e32 v[2:3], s[16:17], v[12:13]
	v_fmac_f64_e32 v[52:53], s[6:7], v[4:5]
	;; [unrolled: 1-line block ×3, first 2 shown]
	v_add_f64 v[4:5], v[72:73], v[8:9]
	s_waitcnt lgkmcnt(0)
	v_mul_f64 v[32:33], v[78:79], v[70:71]
	v_add_f64 v[4:5], v[4:5], v[16:17]
	v_fmac_f64_e32 v[32:33], v[76:77], v[68:69]
	v_mul_f64 v[34:35], v[78:79], v[68:69]
	v_add_f64 v[4:5], v[4:5], v[24:25]
	v_fma_f64 v[34:35], v[76:77], v[70:71], -v[34:35]
	v_add_f64 v[40:41], v[40:41], v[14:15]
	v_add_f64 v[6:7], v[14:15], -v[6:7]
	v_add_f64 v[14:15], v[22:23], -v[30:31]
	v_add_f64 v[28:29], v[4:5], v[32:33]
	v_add_f64 v[4:5], v[16:17], v[24:25]
	;; [unrolled: 1-line block ×4, first 2 shown]
	v_fma_f64 v[22:23], -0.5, v[4:5], v[72:73]
	v_add_f64 v[4:5], v[10:11], -v[34:35]
	v_fmac_f64_e32 v[52:53], s[0:1], v[6:7]
	v_fmac_f64_e32 v[2:3], s[0:1], v[6:7]
	v_fma_f64 v[14:15], s[20:21], v[4:5], v[22:23]
	v_add_f64 v[6:7], v[18:19], -v[26:27]
	v_add_f64 v[12:13], v[8:9], -v[16:17]
	;; [unrolled: 1-line block ×3, first 2 shown]
	v_fmac_f64_e32 v[22:23], s[16:17], v[4:5]
	v_fmac_f64_e32 v[14:15], s[18:19], v[6:7]
	v_add_f64 v[12:13], v[12:13], v[20:21]
	v_fmac_f64_e32 v[22:23], s[6:7], v[6:7]
	v_fmac_f64_e32 v[14:15], s[0:1], v[12:13]
	;; [unrolled: 1-line block ×3, first 2 shown]
	v_add_f64 v[12:13], v[8:9], v[32:33]
	v_fmac_f64_e32 v[72:73], -0.5, v[12:13]
	v_add_f64 v[40:41], v[40:41], v[30:31]
	v_fma_f64 v[30:31], s[16:17], v[6:7], v[72:73]
	v_fmac_f64_e32 v[72:73], s[20:21], v[6:7]
	v_fmac_f64_e32 v[30:31], s[18:19], v[4:5]
	;; [unrolled: 1-line block ×3, first 2 shown]
	v_add_f64 v[4:5], v[48:49], v[10:11]
	v_add_f64 v[4:5], v[4:5], v[18:19]
	;; [unrolled: 1-line block ×3, first 2 shown]
	v_add_f64 v[12:13], v[16:17], -v[8:9]
	v_add_f64 v[20:21], v[24:25], -v[32:33]
	v_add_f64 v[54:55], v[4:5], v[34:35]
	v_add_f64 v[4:5], v[18:19], v[26:27]
	;; [unrolled: 1-line block ×3, first 2 shown]
	v_fma_f64 v[56:57], -0.5, v[4:5], v[48:49]
	v_add_f64 v[4:5], v[8:9], -v[32:33]
	v_fmac_f64_e32 v[30:31], s[0:1], v[12:13]
	v_fmac_f64_e32 v[72:73], s[0:1], v[12:13]
	v_fma_f64 v[32:33], s[16:17], v[4:5], v[56:57]
	v_add_f64 v[6:7], v[16:17], -v[24:25]
	v_add_f64 v[8:9], v[10:11], -v[18:19]
	;; [unrolled: 1-line block ×3, first 2 shown]
	v_fmac_f64_e32 v[56:57], s[20:21], v[4:5]
	v_fmac_f64_e32 v[32:33], s[6:7], v[6:7]
	v_add_f64 v[8:9], v[8:9], v[12:13]
	v_fmac_f64_e32 v[56:57], s[18:19], v[6:7]
	v_fmac_f64_e32 v[32:33], s[0:1], v[8:9]
	;; [unrolled: 1-line block ×3, first 2 shown]
	v_add_f64 v[8:9], v[10:11], v[34:35]
	v_fmac_f64_e32 v[48:49], -0.5, v[8:9]
	v_fma_f64 v[24:25], s[20:21], v[6:7], v[48:49]
	v_add_f64 v[8:9], v[18:19], -v[10:11]
	v_add_f64 v[10:11], v[26:27], -v[34:35]
	v_fmac_f64_e32 v[48:49], s[16:17], v[6:7]
	v_fmac_f64_e32 v[24:25], s[6:7], v[4:5]
	v_add_f64 v[8:9], v[8:9], v[10:11]
	v_fmac_f64_e32 v[48:49], s[18:19], v[4:5]
	v_fmac_f64_e32 v[24:25], s[0:1], v[8:9]
	;; [unrolled: 1-line block ×3, first 2 shown]
	s_mov_b32 s22, 0x9b97f4a8
	v_mul_f64 v[26:27], v[32:33], s[18:19]
	s_mov_b32 s23, 0x3fe9e377
	v_mul_f64 v[34:35], v[24:25], s[20:21]
	v_mul_f64 v[58:59], v[48:49], s[20:21]
	s_mov_b32 s21, 0xbfd3c6ef
	s_mov_b32 s20, s0
	v_mul_f64 v[60:61], v[56:57], s[18:19]
	s_mov_b32 s19, 0xbfe9e377
	s_mov_b32 s18, s22
	v_mul_f64 v[62:63], v[32:33], s[22:23]
	v_mul_f64 v[64:65], v[24:25], s[0:1]
	;; [unrolled: 1-line block ×4, first 2 shown]
	v_fmac_f64_e32 v[26:27], s[22:23], v[14:15]
	v_fmac_f64_e32 v[34:35], s[0:1], v[30:31]
	;; [unrolled: 1-line block ×8, first 2 shown]
	v_add_f64 v[4:5], v[36:37], v[28:29]
	v_add_f64 v[8:9], v[42:43], v[26:27]
	;; [unrolled: 1-line block ×10, first 2 shown]
	v_add_f64 v[24:25], v[36:37], -v[28:29]
	v_add_f64 v[28:29], v[42:43], -v[26:27]
	;; [unrolled: 1-line block ×10, first 2 shown]
	s_barrier
	ds_write_b128 v211, v[4:7]
	ds_write_b128 v211, v[8:11] offset:1040
	ds_write_b128 v211, v[12:15] offset:2080
	;; [unrolled: 1-line block ×9, first 2 shown]
	s_waitcnt lgkmcnt(0)
	s_barrier
	ds_read_b128 v[12:15], v210
	ds_read_b128 v[8:11], v210 offset:3120
	ds_read_b128 v[28:31], v210 offset:20800
	;; [unrolled: 1-line block ×8, first 2 shown]
	s_and_saveexec_b64 s[0:1], s[2:3]
	s_cbranch_execz .LBB0_19
; %bb.18:
	ds_read_b128 v[0:3], v210 offset:9360
	ds_read_b128 v[108:111], v210 offset:19760
	;; [unrolled: 1-line block ×3, first 2 shown]
.LBB0_19:
	s_or_b64 exec, exec, s[0:1]
	s_waitcnt lgkmcnt(4)
	v_mul_f64 v[40:41], v[82:83], v[38:39]
	v_fmac_f64_e32 v[40:41], v[80:81], v[36:37]
	v_mul_f64 v[36:37], v[82:83], v[36:37]
	v_fma_f64 v[36:37], v[80:81], v[38:39], -v[36:37]
	v_mul_f64 v[38:39], v[86:87], v[30:31]
	v_fmac_f64_e32 v[38:39], v[84:85], v[28:29]
	v_mul_f64 v[28:29], v[86:87], v[28:29]
	v_fma_f64 v[28:29], v[84:85], v[30:31], -v[28:29]
	s_waitcnt lgkmcnt(2)
	v_mul_f64 v[30:31], v[90:91], v[34:35]
	s_waitcnt lgkmcnt(0)
	v_mul_f64 v[48:49], v[102:103], v[18:19]
	v_fmac_f64_e32 v[30:31], v[88:89], v[32:33]
	v_mul_f64 v[32:33], v[90:91], v[32:33]
	v_mul_f64 v[44:45], v[98:99], v[22:23]
	v_fmac_f64_e32 v[48:49], v[100:101], v[16:17]
	v_mul_f64 v[16:17], v[102:103], v[16:17]
	v_fma_f64 v[32:33], v[88:89], v[34:35], -v[32:33]
	v_mul_f64 v[34:35], v[94:95], v[26:27]
	v_fmac_f64_e32 v[44:45], v[96:97], v[20:21]
	v_mul_f64 v[20:21], v[98:99], v[20:21]
	v_fma_f64 v[50:51], v[100:101], v[18:19], -v[16:17]
	v_add_f64 v[18:19], v[40:41], v[38:39]
	s_mov_b32 s0, 0xe8584caa
	v_fmac_f64_e32 v[34:35], v[92:93], v[24:25]
	v_mul_f64 v[24:25], v[94:95], v[24:25]
	v_fma_f64 v[46:47], v[96:97], v[22:23], -v[20:21]
	v_add_f64 v[16:17], v[12:13], v[40:41]
	v_fmac_f64_e32 v[12:13], -0.5, v[18:19]
	v_add_f64 v[18:19], v[36:37], -v[28:29]
	s_mov_b32 s1, 0xbfebb67a
	s_mov_b32 s7, 0x3febb67a
	;; [unrolled: 1-line block ×3, first 2 shown]
	v_add_f64 v[22:23], v[36:37], v[28:29]
	v_fma_f64 v[42:43], v[92:93], v[26:27], -v[24:25]
	v_fma_f64 v[20:21], s[0:1], v[18:19], v[12:13]
	v_fmac_f64_e32 v[12:13], s[6:7], v[18:19]
	v_add_f64 v[18:19], v[14:15], v[36:37]
	v_fmac_f64_e32 v[14:15], -0.5, v[22:23]
	v_add_f64 v[24:25], v[40:41], -v[38:39]
	v_add_f64 v[26:27], v[30:31], v[34:35]
	v_fma_f64 v[22:23], s[6:7], v[24:25], v[14:15]
	v_fmac_f64_e32 v[14:15], s[0:1], v[24:25]
	v_add_f64 v[24:25], v[8:9], v[30:31]
	v_fmac_f64_e32 v[8:9], -0.5, v[26:27]
	v_add_f64 v[26:27], v[32:33], -v[42:43]
	v_add_f64 v[18:19], v[18:19], v[28:29]
	v_fma_f64 v[28:29], s[0:1], v[26:27], v[8:9]
	v_fmac_f64_e32 v[8:9], s[6:7], v[26:27]
	v_add_f64 v[26:27], v[10:11], v[32:33]
	v_add_f64 v[32:33], v[32:33], v[42:43]
	v_add_f64 v[24:25], v[24:25], v[34:35]
	v_fmac_f64_e32 v[10:11], -0.5, v[32:33]
	v_add_f64 v[32:33], v[30:31], -v[34:35]
	v_add_f64 v[34:35], v[44:45], v[48:49]
	v_add_f64 v[16:17], v[16:17], v[38:39]
	v_fma_f64 v[30:31], s[6:7], v[32:33], v[10:11]
	v_fmac_f64_e32 v[10:11], s[0:1], v[32:33]
	v_add_f64 v[32:33], v[4:5], v[44:45]
	v_fmac_f64_e32 v[4:5], -0.5, v[34:35]
	v_add_f64 v[34:35], v[46:47], -v[50:51]
	v_add_f64 v[38:39], v[46:47], v[50:51]
	v_fma_f64 v[36:37], s[0:1], v[34:35], v[4:5]
	v_fmac_f64_e32 v[4:5], s[6:7], v[34:35]
	v_add_f64 v[34:35], v[6:7], v[46:47]
	v_fmac_f64_e32 v[6:7], -0.5, v[38:39]
	v_add_f64 v[40:41], v[44:45], -v[48:49]
	v_add_f64 v[26:27], v[26:27], v[42:43]
	v_add_f64 v[32:33], v[32:33], v[48:49]
	;; [unrolled: 1-line block ×3, first 2 shown]
	v_fma_f64 v[38:39], s[6:7], v[40:41], v[6:7]
	v_fmac_f64_e32 v[6:7], s[0:1], v[40:41]
	ds_write_b128 v210, v[16:19]
	ds_write_b128 v210, v[20:23] offset:10400
	ds_write_b128 v210, v[12:15] offset:20800
	;; [unrolled: 1-line block ×8, first 2 shown]
	s_and_saveexec_b64 s[16:17], s[2:3]
	s_cbranch_execz .LBB0_21
; %bb.20:
	v_accvgpr_read_b32 v12, a24
	v_accvgpr_read_b32 v14, a26
	;; [unrolled: 1-line block ×5, first 2 shown]
	v_mul_f64 v[4:5], v[14:15], v[108:109]
	v_accvgpr_read_b32 v20, a30
	v_accvgpr_read_b32 v21, a31
	v_fma_f64 v[6:7], v[12:13], v[110:111], -v[4:5]
	v_accvgpr_read_b32 v19, a29
	v_mul_f64 v[4:5], v[20:21], v[104:105]
	v_fma_f64 v[10:11], v[18:19], v[106:107], -v[4:5]
	v_mul_f64 v[14:15], v[14:15], v[110:111]
	v_mul_f64 v[16:17], v[20:21], v[106:107]
	v_add_f64 v[4:5], v[6:7], v[10:11]
	v_fmac_f64_e32 v[14:15], v[12:13], v[108:109]
	v_fmac_f64_e32 v[16:17], v[18:19], v[104:105]
	v_fma_f64 v[4:5], -0.5, v[4:5], v[2:3]
	v_add_f64 v[12:13], v[14:15], -v[16:17]
	v_add_f64 v[2:3], v[2:3], v[6:7]
	v_fma_f64 v[8:9], s[0:1], v[12:13], v[4:5]
	v_fmac_f64_e32 v[4:5], s[6:7], v[12:13]
	v_add_f64 v[12:13], v[2:3], v[10:11]
	v_add_f64 v[2:3], v[14:15], v[16:17]
	v_fma_f64 v[2:3], -0.5, v[2:3], v[0:1]
	v_add_f64 v[10:11], v[6:7], -v[10:11]
	v_add_f64 v[0:1], v[0:1], v[14:15]
	v_fma_f64 v[6:7], s[6:7], v[10:11], v[2:3]
	v_fmac_f64_e32 v[2:3], s[0:1], v[10:11]
	v_add_f64 v[10:11], v[0:1], v[16:17]
	ds_write_b128 v210, v[10:13] offset:9360
	ds_write_b128 v210, v[2:5] offset:19760
	;; [unrolled: 1-line block ×3, first 2 shown]
.LBB0_21:
	s_or_b64 exec, exec, s[16:17]
	s_waitcnt lgkmcnt(0)
	s_barrier
	s_and_b64 exec, exec, s[4:5]
	s_cbranch_execz .LBB0_23
; %bb.22:
	global_load_dwordx4 v[0:3], v180, s[14:15]
	global_load_dwordx4 v[4:7], v180, s[14:15] offset:2400
	v_mov_b32_e32 v181, 0
	s_movk_i32 s0, 0x1000
	v_lshl_add_u64 v[20:21], s[14:15], 0, v[180:181]
	v_add_co_u32_e32 v16, vcc, s0, v20
	v_mad_u64_u32 v[58:59], s[2:3], s8, v226, 0
	s_nop 0
	v_addc_co_u32_e32 v17, vcc, 0, v21, vcc
	global_load_dwordx4 v[12:15], v[16:17], off offset:704
	global_load_dwordx4 v[8:11], v[16:17], off offset:3104
	s_movk_i32 s2, 0x2000
	v_add_co_u32_e32 v34, vcc, s2, v20
	v_mad_u64_u32 v[56:57], s[0:1], s10, v228, 0
	s_nop 0
	v_addc_co_u32_e32 v35, vcc, 0, v21, vcc
	global_load_dwordx4 v[16:19], v[34:35], off offset:1408
	v_mov_b32_e32 v36, v57
	ds_read_b128 v[22:25], v210
	ds_read_b128 v[26:29], v180 offset:2400
	ds_read_b128 v[30:33], v180 offset:4800
	s_movk_i32 s3, 0x3000
	v_mov_b32_e32 v38, v59
	v_mad_u64_u32 v[42:43], s[4:5], s11, v228, v[36:37]
	global_load_dwordx4 v[34:37], v[34:35], off offset:3808
	v_mad_u64_u32 v[44:45], s[4:5], s9, v226, v[38:39]
	v_add_co_u32_e32 v38, vcc, s3, v20
	s_movk_i32 s6, 0x4000
	s_nop 0
	v_addc_co_u32_e32 v39, vcc, 0, v21, vcc
	global_load_dwordx4 v[38:41], v[38:39], off offset:2112
	v_add_co_u32_e32 v60, vcc, s6, v20
	s_movk_i32 s7, 0x5000
	s_nop 0
	v_addc_co_u32_e32 v61, vcc, 0, v21, vcc
	v_add_co_u32_e32 v62, vcc, s7, v20
	v_mov_b32_e32 v57, v42
	s_nop 0
	v_addc_co_u32_e32 v63, vcc, 0, v21, vcc
	v_mov_b32_e32 v59, v44
	global_load_dwordx4 v[42:45], v[60:61], off offset:416
	global_load_dwordx4 v[46:49], v[60:61], off offset:2816
	;; [unrolled: 1-line block ×3, first 2 shown]
	v_mov_b32_e32 v54, s12
	v_mov_b32_e32 v55, s13
	s_mov_b32 s0, 0xaa677344
	v_lshl_add_u64 v[54:55], v[56:57], 4, v[54:55]
	s_mov_b32 s1, 0x3f40cdd9
	v_mov_b32_e32 v66, 0x960
	v_lshl_add_u64 v[54:55], v[58:59], 4, v[54:55]
	s_mul_i32 s2, s9, 0x960
	v_mad_u64_u32 v[56:57], s[4:5], s8, v66, v[54:55]
	v_add_u32_e32 v57, s2, v57
	v_mad_u64_u32 v[58:59], s[4:5], s8, v66, v[56:57]
	v_add_u32_e32 v59, s2, v59
	s_movk_i32 s3, 0x6000
	s_waitcnt vmcnt(9) lgkmcnt(2)
	v_mul_f64 v[60:61], v[24:25], v[2:3]
	v_mul_f64 v[2:3], v[22:23], v[2:3]
	s_waitcnt vmcnt(8) lgkmcnt(1)
	v_mul_f64 v[64:65], v[28:29], v[6:7]
	v_mul_f64 v[6:7], v[26:27], v[6:7]
	v_fmac_f64_e32 v[60:61], v[22:23], v[0:1]
	v_fma_f64 v[2:3], v[0:1], v[24:25], -v[2:3]
	v_fmac_f64_e32 v[64:65], v[26:27], v[4:5]
	v_fma_f64 v[6:7], v[4:5], v[28:29], -v[6:7]
	v_mul_f64 v[0:1], v[60:61], s[0:1]
	v_mul_f64 v[2:3], v[2:3], s[0:1]
	;; [unrolled: 1-line block ×4, first 2 shown]
	global_store_dwordx4 v[54:55], v[0:3], off
	global_store_dwordx4 v[56:57], v[4:7], off
	ds_read_b128 v[4:7], v180 offset:7200
	s_waitcnt vmcnt(9) lgkmcnt(1)
	v_mul_f64 v[0:1], v[32:33], v[14:15]
	v_mul_f64 v[2:3], v[30:31], v[14:15]
	v_fmac_f64_e32 v[0:1], v[30:31], v[12:13]
	v_fma_f64 v[2:3], v[12:13], v[32:33], -v[2:3]
	v_mul_f64 v[0:1], v[0:1], s[0:1]
	v_mul_f64 v[2:3], v[2:3], s[0:1]
	global_load_dwordx4 v[22:25], v[62:63], off offset:3520
	v_mad_u64_u32 v[26:27], s[4:5], s8, v66, v[58:59]
	global_store_dwordx4 v[58:59], v[0:3], off
	ds_read_b128 v[0:3], v180 offset:9600
	s_waitcnt vmcnt(10) lgkmcnt(1)
	v_mul_f64 v[12:13], v[6:7], v[10:11]
	v_fmac_f64_e32 v[12:13], v[4:5], v[8:9]
	v_mul_f64 v[4:5], v[4:5], v[10:11]
	v_fma_f64 v[4:5], v[8:9], v[6:7], -v[4:5]
	v_mul_f64 v[14:15], v[4:5], s[0:1]
	v_add_co_u32_e32 v4, vcc, s3, v20
	s_waitcnt vmcnt(9) lgkmcnt(0)
	v_mul_f64 v[8:9], v[2:3], v[18:19]
	v_addc_co_u32_e32 v5, vcc, 0, v21, vcc
	global_load_dwordx4 v[4:7], v[4:5], off offset:1824
	v_fmac_f64_e32 v[8:9], v[0:1], v[16:17]
	v_mul_f64 v[0:1], v[0:1], v[18:19]
	v_fma_f64 v[0:1], v[16:17], v[2:3], -v[0:1]
	v_add_u32_e32 v27, s2, v27
	v_mul_f64 v[10:11], v[0:1], s[0:1]
	ds_read_b128 v[0:3], v180 offset:12000
	v_mad_u64_u32 v[16:17], s[4:5], s8, v66, v[26:27]
	v_mul_f64 v[12:13], v[12:13], s[0:1]
	v_mul_f64 v[8:9], v[8:9], s[0:1]
	v_add_u32_e32 v17, s2, v17
	global_store_dwordx4 v[26:27], v[12:15], off
	global_store_dwordx4 v[16:17], v[8:11], off
	ds_read_b128 v[8:11], v180 offset:14400
	s_waitcnt vmcnt(11) lgkmcnt(1)
	v_mul_f64 v[12:13], v[2:3], v[36:37]
	v_fmac_f64_e32 v[12:13], v[0:1], v[34:35]
	v_mul_f64 v[0:1], v[0:1], v[36:37]
	v_fma_f64 v[0:1], v[34:35], v[2:3], -v[0:1]
	v_mul_f64 v[14:15], v[0:1], s[0:1]
	v_mad_u64_u32 v[16:17], s[4:5], s8, v66, v[16:17]
	s_waitcnt vmcnt(10) lgkmcnt(0)
	v_mul_f64 v[0:1], v[10:11], v[40:41]
	v_mul_f64 v[2:3], v[8:9], v[40:41]
	;; [unrolled: 1-line block ×3, first 2 shown]
	v_add_u32_e32 v17, s2, v17
	v_fmac_f64_e32 v[0:1], v[8:9], v[38:39]
	v_fma_f64 v[2:3], v[38:39], v[10:11], -v[2:3]
	ds_read_b128 v[8:11], v180 offset:16800
	global_store_dwordx4 v[16:17], v[12:15], off
	v_mad_u64_u32 v[16:17], s[4:5], s8, v66, v[16:17]
	v_mul_f64 v[0:1], v[0:1], s[0:1]
	v_mul_f64 v[2:3], v[2:3], s[0:1]
	v_add_u32_e32 v17, s2, v17
	global_store_dwordx4 v[16:17], v[0:3], off
	ds_read_b128 v[0:3], v180 offset:19200
	s_waitcnt vmcnt(11) lgkmcnt(1)
	v_mul_f64 v[12:13], v[10:11], v[44:45]
	v_fmac_f64_e32 v[12:13], v[8:9], v[42:43]
	v_mul_f64 v[8:9], v[8:9], v[44:45]
	v_fma_f64 v[8:9], v[42:43], v[10:11], -v[8:9]
	v_mul_f64 v[14:15], v[8:9], s[0:1]
	s_waitcnt vmcnt(10) lgkmcnt(0)
	v_mul_f64 v[8:9], v[2:3], v[48:49]
	v_fmac_f64_e32 v[8:9], v[0:1], v[46:47]
	v_mul_f64 v[0:1], v[0:1], v[48:49]
	v_mad_u64_u32 v[16:17], s[4:5], s8, v66, v[16:17]
	v_fma_f64 v[0:1], v[46:47], v[2:3], -v[0:1]
	v_mul_f64 v[12:13], v[12:13], s[0:1]
	v_add_u32_e32 v17, s2, v17
	v_mul_f64 v[10:11], v[0:1], s[0:1]
	ds_read_b128 v[0:3], v180 offset:21600
	global_store_dwordx4 v[16:17], v[12:15], off
	v_mad_u64_u32 v[16:17], s[4:5], s8, v66, v[16:17]
	v_mul_f64 v[8:9], v[8:9], s[0:1]
	v_add_u32_e32 v17, s2, v17
	global_store_dwordx4 v[16:17], v[8:11], off
	ds_read_b128 v[8:11], v180 offset:24000
	s_waitcnt vmcnt(11) lgkmcnt(1)
	v_mul_f64 v[12:13], v[2:3], v[52:53]
	v_fmac_f64_e32 v[12:13], v[0:1], v[50:51]
	v_mul_f64 v[0:1], v[0:1], v[52:53]
	v_fma_f64 v[0:1], v[50:51], v[2:3], -v[0:1]
	v_mul_f64 v[14:15], v[0:1], s[0:1]
	v_mad_u64_u32 v[16:17], s[4:5], s8, v66, v[16:17]
	s_waitcnt vmcnt(8) lgkmcnt(0)
	v_mul_f64 v[0:1], v[10:11], v[24:25]
	v_mul_f64 v[2:3], v[8:9], v[24:25]
	v_fmac_f64_e32 v[0:1], v[8:9], v[22:23]
	v_fma_f64 v[2:3], v[22:23], v[10:11], -v[2:3]
	ds_read_b128 v[8:11], v180 offset:26400
	v_mul_f64 v[12:13], v[12:13], s[0:1]
	v_add_u32_e32 v17, s2, v17
	global_store_dwordx4 v[16:17], v[12:15], off
	v_mad_u64_u32 v[16:17], s[4:5], s8, v66, v[16:17]
	v_mul_f64 v[0:1], v[0:1], s[0:1]
	v_mul_f64 v[2:3], v[2:3], s[0:1]
	v_add_u32_e32 v17, s2, v17
	global_store_dwordx4 v[16:17], v[0:3], off
	ds_read_b128 v[0:3], v180 offset:28800
	s_waitcnt vmcnt(8) lgkmcnt(1)
	v_mul_f64 v[12:13], v[10:11], v[6:7]
	v_mul_f64 v[6:7], v[8:9], v[6:7]
	v_fmac_f64_e32 v[12:13], v[8:9], v[4:5]
	v_fma_f64 v[4:5], v[4:5], v[10:11], -v[6:7]
	v_mad_u64_u32 v[16:17], s[4:5], s8, v66, v[16:17]
	s_movk_i32 s3, 0x7000
	v_mul_f64 v[12:13], v[12:13], s[0:1]
	v_mul_f64 v[14:15], v[4:5], s[0:1]
	v_add_u32_e32 v17, s2, v17
	v_add_co_u32_e32 v4, vcc, s3, v20
	global_store_dwordx4 v[16:17], v[12:15], off
	s_nop 0
	v_addc_co_u32_e32 v5, vcc, 0, v21, vcc
	global_load_dwordx4 v[4:7], v[4:5], off offset:128
	s_waitcnt vmcnt(0) lgkmcnt(0)
	v_mul_f64 v[8:9], v[2:3], v[6:7]
	v_fmac_f64_e32 v[8:9], v[0:1], v[4:5]
	v_mul_f64 v[0:1], v[0:1], v[6:7]
	v_fma_f64 v[0:1], v[4:5], v[2:3], -v[0:1]
	v_mul_f64 v[8:9], v[8:9], s[0:1]
	v_mul_f64 v[10:11], v[0:1], s[0:1]
	v_mad_u64_u32 v[0:1], s[0:1], s8, v66, v[16:17]
	v_add_u32_e32 v1, s2, v1
	global_store_dwordx4 v[0:1], v[8:11], off
.LBB0_23:
	s_endpgm
	.section	.rodata,"a",@progbits
	.p2align	6, 0x0
	.amdhsa_kernel bluestein_single_back_len1950_dim1_dp_op_CI_CI
		.amdhsa_group_segment_fixed_size 31200
		.amdhsa_private_segment_fixed_size 0
		.amdhsa_kernarg_size 104
		.amdhsa_user_sgpr_count 2
		.amdhsa_user_sgpr_dispatch_ptr 0
		.amdhsa_user_sgpr_queue_ptr 0
		.amdhsa_user_sgpr_kernarg_segment_ptr 1
		.amdhsa_user_sgpr_dispatch_id 0
		.amdhsa_user_sgpr_kernarg_preload_length 0
		.amdhsa_user_sgpr_kernarg_preload_offset 0
		.amdhsa_user_sgpr_private_segment_size 0
		.amdhsa_uses_dynamic_stack 0
		.amdhsa_enable_private_segment 0
		.amdhsa_system_sgpr_workgroup_id_x 1
		.amdhsa_system_sgpr_workgroup_id_y 0
		.amdhsa_system_sgpr_workgroup_id_z 0
		.amdhsa_system_sgpr_workgroup_info 0
		.amdhsa_system_vgpr_workitem_id 0
		.amdhsa_next_free_vgpr 354
		.amdhsa_next_free_sgpr 50
		.amdhsa_accum_offset 256
		.amdhsa_reserve_vcc 1
		.amdhsa_float_round_mode_32 0
		.amdhsa_float_round_mode_16_64 0
		.amdhsa_float_denorm_mode_32 3
		.amdhsa_float_denorm_mode_16_64 3
		.amdhsa_dx10_clamp 1
		.amdhsa_ieee_mode 1
		.amdhsa_fp16_overflow 0
		.amdhsa_tg_split 0
		.amdhsa_exception_fp_ieee_invalid_op 0
		.amdhsa_exception_fp_denorm_src 0
		.amdhsa_exception_fp_ieee_div_zero 0
		.amdhsa_exception_fp_ieee_overflow 0
		.amdhsa_exception_fp_ieee_underflow 0
		.amdhsa_exception_fp_ieee_inexact 0
		.amdhsa_exception_int_div_zero 0
	.end_amdhsa_kernel
	.text
.Lfunc_end0:
	.size	bluestein_single_back_len1950_dim1_dp_op_CI_CI, .Lfunc_end0-bluestein_single_back_len1950_dim1_dp_op_CI_CI
                                        ; -- End function
	.section	.AMDGPU.csdata,"",@progbits
; Kernel info:
; codeLenInByte = 20668
; NumSgprs: 56
; NumVgprs: 256
; NumAgprs: 98
; TotalNumVgprs: 354
; ScratchSize: 0
; MemoryBound: 0
; FloatMode: 240
; IeeeMode: 1
; LDSByteSize: 31200 bytes/workgroup (compile time only)
; SGPRBlocks: 6
; VGPRBlocks: 44
; NumSGPRsForWavesPerEU: 56
; NumVGPRsForWavesPerEU: 354
; AccumOffset: 256
; Occupancy: 1
; WaveLimiterHint : 1
; COMPUTE_PGM_RSRC2:SCRATCH_EN: 0
; COMPUTE_PGM_RSRC2:USER_SGPR: 2
; COMPUTE_PGM_RSRC2:TRAP_HANDLER: 0
; COMPUTE_PGM_RSRC2:TGID_X_EN: 1
; COMPUTE_PGM_RSRC2:TGID_Y_EN: 0
; COMPUTE_PGM_RSRC2:TGID_Z_EN: 0
; COMPUTE_PGM_RSRC2:TIDIG_COMP_CNT: 0
; COMPUTE_PGM_RSRC3_GFX90A:ACCUM_OFFSET: 63
; COMPUTE_PGM_RSRC3_GFX90A:TG_SPLIT: 0
	.text
	.p2alignl 6, 3212836864
	.fill 256, 4, 3212836864
	.type	__hip_cuid_2f19d0ac56138826,@object ; @__hip_cuid_2f19d0ac56138826
	.section	.bss,"aw",@nobits
	.globl	__hip_cuid_2f19d0ac56138826
__hip_cuid_2f19d0ac56138826:
	.byte	0                               ; 0x0
	.size	__hip_cuid_2f19d0ac56138826, 1

	.ident	"AMD clang version 19.0.0git (https://github.com/RadeonOpenCompute/llvm-project roc-6.4.0 25133 c7fe45cf4b819c5991fe208aaa96edf142730f1d)"
	.section	".note.GNU-stack","",@progbits
	.addrsig
	.addrsig_sym __hip_cuid_2f19d0ac56138826
	.amdgpu_metadata
---
amdhsa.kernels:
  - .agpr_count:     98
    .args:
      - .actual_access:  read_only
        .address_space:  global
        .offset:         0
        .size:           8
        .value_kind:     global_buffer
      - .actual_access:  read_only
        .address_space:  global
        .offset:         8
        .size:           8
        .value_kind:     global_buffer
      - .actual_access:  read_only
        .address_space:  global
        .offset:         16
        .size:           8
        .value_kind:     global_buffer
      - .actual_access:  read_only
        .address_space:  global
        .offset:         24
        .size:           8
        .value_kind:     global_buffer
      - .actual_access:  read_only
        .address_space:  global
        .offset:         32
        .size:           8
        .value_kind:     global_buffer
      - .offset:         40
        .size:           8
        .value_kind:     by_value
      - .address_space:  global
        .offset:         48
        .size:           8
        .value_kind:     global_buffer
      - .address_space:  global
        .offset:         56
        .size:           8
        .value_kind:     global_buffer
      - .address_space:  global
        .offset:         64
        .size:           8
        .value_kind:     global_buffer
      - .address_space:  global
        .offset:         72
        .size:           8
        .value_kind:     global_buffer
      - .offset:         80
        .size:           4
        .value_kind:     by_value
      - .address_space:  global
        .offset:         88
        .size:           8
        .value_kind:     global_buffer
      - .address_space:  global
        .offset:         96
        .size:           8
        .value_kind:     global_buffer
    .group_segment_fixed_size: 31200
    .kernarg_segment_align: 8
    .kernarg_segment_size: 104
    .language:       OpenCL C
    .language_version:
      - 2
      - 0
    .max_flat_workgroup_size: 195
    .name:           bluestein_single_back_len1950_dim1_dp_op_CI_CI
    .private_segment_fixed_size: 0
    .sgpr_count:     56
    .sgpr_spill_count: 0
    .symbol:         bluestein_single_back_len1950_dim1_dp_op_CI_CI.kd
    .uniform_work_group_size: 1
    .uses_dynamic_stack: false
    .vgpr_count:     354
    .vgpr_spill_count: 0
    .wavefront_size: 64
amdhsa.target:   amdgcn-amd-amdhsa--gfx950
amdhsa.version:
  - 1
  - 2
...

	.end_amdgpu_metadata
